;; amdgpu-corpus repo=ROCm/Tensile kind=harvested arch=n/a opt=n/a

/******************************************/
/* Function Prefix                        */
/******************************************/



/******************************************/
/* Begin Kernel                           */
/******************************************/

// Component.Signature.SignatureDefault
.amdgcn_target "amdgcn-amd-amdhsa--gfx90a"
.text
.protected Cijk_Alik_BjlkC_CB_MT64x64x16_MI16x16x4x1_SN_1LDSB1_APM1_AF0EM1_AF1EM1_AMAS3_ASGT_ASLT_ASAE01_ASCE01_ASEM1_BL1_BS1_CLR0_DTLA0_DTLB0_DTVA0_DVO0_EPS1_FL0_GLVWA2_GLVWB2_GRVW2_GSU1_GSUASB_GLS0_ISA90a_IU1_K1_KLA_LBSPPA128_LBSPPB0_LPA2_LPB0_LDL1_LRVW2_LDW0_FMA_MIAV1_MMFGLC_NTA0_NTB0_NTC3_NTD3_NEPBS0_NLCA1_NLCB1_ONLL1_OPLV0_PK0_PAP0_PGR2_PLR5_SIA3_SS1_SU0_SUM0_SUS0_SCIUI1_SPO1_SRVW0_SSO4_SVW2_SNLL0_TT2_32_TLDS1_UMLDSA1_UMLDSB0_USFGROn1_VAW1_VSn1_VW2_VWB1_VFLRP0_WSGRA0_WSGRB0_WG32_8_1_WGM5
.globl Cijk_Alik_BjlkC_CB_MT64x64x16_MI16x16x4x1_SN_1LDSB1_APM1_AF0EM1_AF1EM1_AMAS3_ASGT_ASLT_ASAE01_ASCE01_ASEM1_BL1_BS1_CLR0_DTLA0_DTLB0_DTVA0_DVO0_EPS1_FL0_GLVWA2_GLVWB2_GRVW2_GSU1_GSUASB_GLS0_ISA90a_IU1_K1_KLA_LBSPPA128_LBSPPB0_LPA2_LPB0_LDL1_LRVW2_LDW0_FMA_MIAV1_MMFGLC_NTA0_NTB0_NTC3_NTD3_NEPBS0_NLCA1_NLCB1_ONLL1_OPLV0_PK0_PAP0_PGR2_PLR5_SIA3_SS1_SU0_SUM0_SUS0_SCIUI1_SPO1_SRVW0_SSO4_SVW2_SNLL0_TT2_32_TLDS1_UMLDSA1_UMLDSB0_USFGROn1_VAW1_VSn1_VW2_VWB1_VFLRP0_WSGRA0_WSGRB0_WG32_8_1_WGM5
.p2align 8
.type Cijk_Alik_BjlkC_CB_MT64x64x16_MI16x16x4x1_SN_1LDSB1_APM1_AF0EM1_AF1EM1_AMAS3_ASGT_ASLT_ASAE01_ASCE01_ASEM1_BL1_BS1_CLR0_DTLA0_DTLB0_DTVA0_DVO0_EPS1_FL0_GLVWA2_GLVWB2_GRVW2_GSU1_GSUASB_GLS0_ISA90a_IU1_K1_KLA_LBSPPA128_LBSPPB0_LPA2_LPB0_LDL1_LRVW2_LDW0_FMA_MIAV1_MMFGLC_NTA0_NTB0_NTC3_NTD3_NEPBS0_NLCA1_NLCB1_ONLL1_OPLV0_PK0_PAP0_PGR2_PLR5_SIA3_SS1_SU0_SUM0_SUS0_SCIUI1_SPO1_SRVW0_SSO4_SVW2_SNLL0_TT2_32_TLDS1_UMLDSA1_UMLDSB0_USFGROn1_VAW1_VSn1_VW2_VWB1_VFLRP0_WSGRA0_WSGRB0_WG32_8_1_WGM5,@function
.section .rodata,#alloc
.p2align 6
.amdhsa_kernel Cijk_Alik_BjlkC_CB_MT64x64x16_MI16x16x4x1_SN_1LDSB1_APM1_AF0EM1_AF1EM1_AMAS3_ASGT_ASLT_ASAE01_ASCE01_ASEM1_BL1_BS1_CLR0_DTLA0_DTLB0_DTVA0_DVO0_EPS1_FL0_GLVWA2_GLVWB2_GRVW2_GSU1_GSUASB_GLS0_ISA90a_IU1_K1_KLA_LBSPPA128_LBSPPB0_LPA2_LPB0_LDL1_LRVW2_LDW0_FMA_MIAV1_MMFGLC_NTA0_NTB0_NTC3_NTD3_NEPBS0_NLCA1_NLCB1_ONLL1_OPLV0_PK0_PAP0_PGR2_PLR5_SIA3_SS1_SU0_SUM0_SUS0_SCIUI1_SPO1_SRVW0_SSO4_SVW2_SNLL0_TT2_32_TLDS1_UMLDSA1_UMLDSB0_USFGROn1_VAW1_VSn1_VW2_VWB1_VFLRP0_WSGRA0_WSGRB0_WG32_8_1_WGM5
  .amdhsa_user_sgpr_kernarg_segment_ptr 1
  .amdhsa_user_sgpr_kernarg_preload_offset 0
  .amdhsa_user_sgpr_kernarg_preload_length 0
  .amdhsa_user_sgpr_count 2
  .amdhsa_accum_offset 168 // accvgpr offset
  .amdhsa_next_free_vgpr 168 // vgprs
  .amdhsa_next_free_sgpr 60 // sgprs
  .amdhsa_group_segment_fixed_size 17408 // lds bytes
  .amdhsa_private_segment_fixed_size 0
  .amdhsa_system_sgpr_workgroup_id_x 1
  .amdhsa_system_sgpr_workgroup_id_y 1
  .amdhsa_system_sgpr_workgroup_id_z 1
  .amdhsa_system_vgpr_workitem_id 0
  .amdhsa_float_denorm_mode_32 3
  .amdhsa_float_denorm_mode_16_64 3
.end_amdhsa_kernel
.text

/******************************************/
/* Optimizations and Config:              */
/******************************************/
/* ThreadTile= 8 x 2 */
/* SubGroup= 8 x 32 */
/* VectorWidthA=2 */
/* VectorWidthB=1 */
/* GlobalLoadVectorWidthA=2, GlobalLoadVectorWidthB=2 */
/* DirectToLdsA=False */
/* DirectToLdsB=False */
/* UseSgprForGRO=False */
.amdgpu_metadata
---
amdhsa.version:
  - 1
  - 1
amdhsa.target: amdgcn-amd-amdhsa--gfx90a
amdhsa.kernels:
  - .name: Cijk_Alik_BjlkC_CB_MT64x64x16_MI16x16x4x1_SN_1LDSB1_APM1_AF0EM1_AF1EM1_AMAS3_ASGT_ASLT_ASAE01_ASCE01_ASEM1_BL1_BS1_CLR0_DTLA0_DTLB0_DTVA0_DVO0_EPS1_FL0_GLVWA2_GLVWB2_GRVW2_GSU1_GSUASB_GLS0_ISA90a_IU1_K1_KLA_LBSPPA128_LBSPPB0_LPA2_LPB0_LDL1_LRVW2_LDW0_FMA_MIAV1_MMFGLC_NTA0_NTB0_NTC3_NTD3_NEPBS0_NLCA1_NLCB1_ONLL1_OPLV0_PK0_PAP0_PGR2_PLR5_SIA3_SS1_SU0_SUM0_SUS0_SCIUI1_SPO1_SRVW0_SSO4_SVW2_SNLL0_TT2_32_TLDS1_UMLDSA1_UMLDSB0_USFGROn1_VAW1_VSn1_VW2_VWB1_VFLRP0_WSGRA0_WSGRB0_WG32_8_1_WGM5
    .symbol: 'Cijk_Alik_BjlkC_CB_MT64x64x16_MI16x16x4x1_SN_1LDSB1_APM1_AF0EM1_AF1EM1_AMAS3_ASGT_ASLT_ASAE01_ASCE01_ASEM1_BL1_BS1_CLR0_DTLA0_DTLB0_DTVA0_DVO0_EPS1_FL0_GLVWA2_GLVWB2_GRVW2_GSU1_GSUASB_GLS0_ISA90a_IU1_K1_KLA_LBSPPA128_LBSPPB0_LPA2_LPB0_LDL1_LRVW2_LDW0_FMA_MIAV1_MMFGLC_NTA0_NTB0_NTC3_NTD3_NEPBS0_NLCA1_NLCB1_ONLL1_OPLV0_PK0_PAP0_PGR2_PLR5_SIA3_SS1_SU0_SUM0_SUS0_SCIUI1_SPO1_SRVW0_SSO4_SVW2_SNLL0_TT2_32_TLDS1_UMLDSA1_UMLDSB0_USFGROn1_VAW1_VSn1_VW2_VWB1_VFLRP0_WSGRA0_WSGRB0_WG32_8_1_WGM5.kd'
    .language:                   OpenCL C
    .language_version:
      - 2
      - 0
    .args:
      - .name:            Tensor2dSizeA
        .size:            8
        .offset:          0
        .value_kind:      by_value
        .value_type:      u64
      - .name:            Tensor2dSizeB
        .size:            8
        .offset:          8
        .value_kind:      by_value
        .value_type:      u64
      - .name:            AddressD
        .size:            8
        .offset:          16
        .value_kind:      by_value
        .value_type:      u64
      - .name:            AddressC
        .size:            8
        .offset:          24
        .value_kind:      by_value
        .value_type:      u64
      - .name:            AddressA
        .size:            8
        .offset:          32
        .value_kind:      by_value
        .value_type:      u64
      - .name:            AddressB
        .size:            8
        .offset:          40
        .value_kind:      by_value
        .value_type:      u64
      - .name:            Alpha
        .size:            8
        .offset:          48
        .value_kind:      by_value
        .value_type:      u64
      - .name:            Beta
        .size:            8
        .offset:          56
        .value_kind:      by_value
        .value_type:      u64
      - .name:            StridesD
        .size:            8
        .offset:          64
        .value_kind:      by_value
        .value_type:      u64
      - .name:            StridesC
        .size:            8
        .offset:          72
        .value_kind:      by_value
        .value_type:      u64
      - .name:            StridesA
        .size:            8
        .offset:          80
        .value_kind:      by_value
        .value_type:      u64
      - .name:            StridesB
        .size:            8
        .offset:          88
        .value_kind:      by_value
        .value_type:      u64
      - .name:            SizesFree
        .size:            12
        .offset:          96
        .value_kind:      by_value
        .value_type:      u96
      - .name:            SizesSum
        .size:            4
        .offset:          108
        .value_kind:      by_value
        .value_type:      u32
      - .name:            NumWorkGroups0
        .size:            4
        .offset:          112
        .value_kind:      by_value
        .value_type:      u32
      - .name:            NumWorkGroups1
        .size:            4
        .offset:          116
        .value_kind:      by_value
        .value_type:      u32
      - .name:            NumFullBlocks
        .size:            4
        .offset:          120
        .value_kind:      by_value
        .value_type:      u32
      - .name:            WgmRemainder1
        .size:            4
        .offset:          124
        .value_kind:      by_value
        .value_type:      u32
      - .name:            MagicNumberWgmRemainder1
        .size:            4
        .offset:          128
        .value_kind:      by_value
        .value_type:      u32
    .group_segment_fixed_size:   17408
    .kernarg_segment_align:      8
    .kernarg_segment_size:       136
    .max_flat_workgroup_size:    256
    .private_segment_fixed_size: 0
    .sgpr_count:                 60
    .sgpr_spill_count:           0
    .vgpr_count:                 168
    .vgpr_spill_count:           0
    .wavefront_size:             64
...
.end_amdgpu_metadata
Cijk_Alik_BjlkC_CB_MT64x64x16_MI16x16x4x1_SN_1LDSB1_APM1_AF0EM1_AF1EM1_AMAS3_ASGT_ASLT_ASAE01_ASCE01_ASEM1_BL1_BS1_CLR0_DTLA0_DTLB0_DTVA0_DVO0_EPS1_FL0_GLVWA2_GLVWB2_GRVW2_GSU1_GSUASB_GLS0_ISA90a_IU1_K1_KLA_LBSPPA128_LBSPPB0_LPA2_LPB0_LDL1_LRVW2_LDW0_FMA_MIAV1_MMFGLC_NTA0_NTB0_NTC3_NTD3_NEPBS0_NLCA1_NLCB1_ONLL1_OPLV0_PK0_PAP0_PGR2_PLR5_SIA3_SS1_SU0_SUM0_SUS0_SCIUI1_SPO1_SRVW0_SSO4_SVW2_SNLL0_TT2_32_TLDS1_UMLDSA1_UMLDSB0_USFGROn1_VAW1_VSn1_VW2_VWB1_VFLRP0_WSGRA0_WSGRB0_WG32_8_1_WGM5:

/******************************************/
/* Asm syntax workarounds                 */
/******************************************/
.macro _v_add_co_u32 dst:req, cc:req, src0:req, src1:req, dpp=
   v_add_co_u32 \dst, \cc, \src0, \src1 \dpp
.endm

.macro _v_add_u32 dst:req, src0:req, src1:req, dpp=
   v_add_u32 \dst, \src0, \src1 \dpp
.endm

.macro _v_add_i32 dst:req, src0:req, src1:req, dpp=
   v_add_i32 \dst, \src0, \src1 \dpp
.endm

.macro _v_addc_co_u32 dst:req, ccOut:req, src0:req, ccIn:req, src1:req, dpp=
   v_addc_co_u32 \dst, \ccOut, \src0, \ccIn, \src1 \dpp
.endm

.macro _v_sub_co_u32 dst:req, cc:req, src0:req, src1:req, dpp=
   v_sub_co_u32 \dst, \cc, \src0, \src1 \dpp
.endm

.macro _v_sub_u32 dst:req, src0:req, src1:req, dpp=
   v_sub_u32 \dst, \src0, \src1 \dpp
.endm

.macro _v_sub_i32 dst:req, src0:req, src1:req, dpp=
   v_sub_i32 \dst, \src0, \src1 \dpp
.endm

.macro _v_add_lshl_u32 dst:req, src0:req, src1:req, shiftCnt:req
    v_add_lshl_u32 \dst, \src0, \src1, \shiftCnt
.endm

.macro _v_lshl_add_u32 dst:req, src0:req, src1:req, shiftCnt:req
    v_lshl_add_u32 \dst, \src0, \src1, \shiftCnt
.endm

.macro _v_lshl_or_b32 dst:req, src0:req, shiftCnt:req, src1:req
    v_lshl_or_b32 \dst, \src0, \shiftCnt, \src1
.endm

.macro _v_dot2acc_f32_f16 dst, src0, src1
v_dot2c_f32_f16 \dst, \src0, \src1
.endm

.macro _v_cmpx_lt_i16 dst, src0, src1=
   v_cmpx_lt_i16 \dst, \src0, \src1 
.endm

.macro _v_cmpx_lt_i32 dst, src0, src1=
   v_cmpx_lt_i32 \dst, \src0, \src1 
.endm

.macro _v_cmpx_lt_i64 dst, src0, src1=
   v_cmpx_lt_i64 \dst, \src0, \src1 
.endm

.macro _v_cmpx_lt_u16 dst, src0, src1=
   v_cmpx_lt_u16 \dst, \src0, \src1 
.endm

.macro _v_cmpx_lt_u32 dst, src0, src1=
   v_cmpx_lt_u32 \dst, \src0, \src1 
.endm

.macro _v_cmpx_lt_u64 dst, src0, src1=
   v_cmpx_lt_u64 \dst, \src0, \src1 
.endm

.macro _v_cmpx_eq_i16 dst, src0, src1=
   v_cmpx_eq_i16 \dst, \src0, \src1 
.endm

.macro _v_cmpx_eq_i32 dst, src0, src1=
   v_cmpx_eq_i32 \dst, \src0, \src1 
.endm

.macro _v_cmpx_eq_i64 dst, src0, src1=
   v_cmpx_eq_i64 \dst, \src0, \src1 
.endm

.macro _v_cmpx_eq_u16 dst, src0, src1=
   v_cmpx_eq_u16 \dst, \src0, \src1 
.endm

.macro _v_cmpx_eq_u32 dst, src0, src1=
   v_cmpx_eq_u32 \dst, \src0, \src1 
.endm

.macro _v_cmpx_eq_u64 dst, src0, src1=
   v_cmpx_eq_u64 \dst, \src0, \src1 
.endm

.macro _v_cmpx_le_i16 dst, src0, src1=
   v_cmpx_le_i16 \dst, \src0, \src1 
.endm

.macro _v_cmpx_le_i32 dst, src0, src1=
   v_cmpx_le_i32 \dst, \src0, \src1 
.endm

.macro _v_cmpx_le_i64 dst, src0, src1=
   v_cmpx_le_i64 \dst, \src0, \src1 
.endm

.macro _v_cmpx_le_u16 dst, src0, src1=
   v_cmpx_le_u16 \dst, \src0, \src1 
.endm

.macro _v_cmpx_le_u32 dst, src0, src1=
   v_cmpx_le_u32 \dst, \src0, \src1 
.endm

.macro _v_cmpx_le_u64 dst, src0, src1=
   v_cmpx_le_u64 \dst, \src0, \src1 
.endm

.macro _v_cmpx_gt_i16 dst, src0, src1=
   v_cmpx_gt_i16 \dst, \src0, \src1 
.endm

.macro _v_cmpx_gt_i32 dst, src0, src1=
   v_cmpx_gt_i32 \dst, \src0, \src1 
.endm

.macro _v_cmpx_gt_i64 dst, src0, src1=
   v_cmpx_gt_i64 \dst, \src0, \src1 
.endm

.macro _v_cmpx_gt_u16 dst, src0, src1=
   v_cmpx_gt_u16 \dst, \src0, \src1 
.endm

.macro _v_cmpx_gt_u32 dst, src0, src1=
   v_cmpx_gt_u32 \dst, \src0, \src1 
.endm

.macro _v_cmpx_gt_u64 dst, src0, src1=
   v_cmpx_gt_u64 \dst, \src0, \src1 
.endm

.macro _v_cmpx_ne_i16 dst, src0, src1=
   v_cmpx_ne_i16 \dst, \src0, \src1 
.endm

.macro _v_cmpx_ne_i32 dst, src0, src1=
   v_cmpx_ne_i32 \dst, \src0, \src1 
.endm

.macro _v_cmpx_ne_i64 dst, src0, src1=
   v_cmpx_ne_i64 \dst, \src0, \src1 
.endm

.macro _v_cmpx_ne_u16 dst, src0, src1=
   v_cmpx_ne_u16 \dst, \src0, \src1 
.endm

.macro _v_cmpx_ne_u32 dst, src0, src1=
   v_cmpx_ne_u32 \dst, \src0, \src1 
.endm

.macro _v_cmpx_ne_u64 dst, src0, src1=
   v_cmpx_ne_u64 \dst, \src0, \src1 
.endm

.macro _v_cmpx_lg_i16 dst, src0, src1=
   v_cmpx_lg_i16 \dst, \src0, \src1 
.endm

.macro _v_cmpx_lg_i32 dst, src0, src1=
   v_cmpx_lg_i32 \dst, \src0, \src1 
.endm

.macro _v_cmpx_lg_i64 dst, src0, src1=
   v_cmpx_lg_i64 \dst, \src0, \src1 
.endm

.macro _v_cmpx_lg_u16 dst, src0, src1=
   v_cmpx_lg_u16 \dst, \src0, \src1 
.endm

.macro _v_cmpx_lg_u32 dst, src0, src1=
   v_cmpx_lg_u32 \dst, \src0, \src1 
.endm

.macro _v_cmpx_lg_u64 dst, src0, src1=
   v_cmpx_lg_u64 \dst, \src0, \src1 
.endm

.macro _v_cmpx_ge_i16 dst, src0, src1=
   v_cmpx_ge_i16 \dst, \src0, \src1 
.endm

.macro _v_cmpx_ge_i32 dst, src0, src1=
   v_cmpx_ge_i32 \dst, \src0, \src1 
.endm

.macro _v_cmpx_ge_i64 dst, src0, src1=
   v_cmpx_ge_i64 \dst, \src0, \src1 
.endm

.macro _v_cmpx_ge_u16 dst, src0, src1=
   v_cmpx_ge_u16 \dst, \src0, \src1 
.endm

.macro _v_cmpx_ge_u32 dst, src0, src1=
   v_cmpx_ge_u32 \dst, \src0, \src1 
.endm

.macro _v_cmpx_ge_u64 dst, src0, src1=
   v_cmpx_ge_u64 \dst, \src0, \src1 
.endm

.macro _v_cmpx_o_i16 dst, src0, src1=
   v_cmpx_o_i16 \dst, \src0, \src1 
.endm

.macro _v_cmpx_o_i32 dst, src0, src1=
   v_cmpx_o_i32 \dst, \src0, \src1 
.endm

.macro _v_cmpx_o_i64 dst, src0, src1=
   v_cmpx_o_i64 \dst, \src0, \src1 
.endm

.macro _v_cmpx_o_u16 dst, src0, src1=
   v_cmpx_o_u16 \dst, \src0, \src1 
.endm

.macro _v_cmpx_o_u32 dst, src0, src1=
   v_cmpx_o_u32 \dst, \src0, \src1 
.endm

.macro _v_cmpx_o_u64 dst, src0, src1=
   v_cmpx_o_u64 \dst, \src0, \src1 
.endm

.macro _v_cmpx_u_i16 dst, src0, src1=
   v_cmpx_u_i16 \dst, \src0, \src1 
.endm

.macro _v_cmpx_u_i32 dst, src0, src1=
   v_cmpx_u_i32 \dst, \src0, \src1 
.endm

.macro _v_cmpx_u_i64 dst, src0, src1=
   v_cmpx_u_i64 \dst, \src0, \src1 
.endm

.macro _v_cmpx_u_u16 dst, src0, src1=
   v_cmpx_u_u16 \dst, \src0, \src1 
.endm

.macro _v_cmpx_u_u32 dst, src0, src1=
   v_cmpx_u_u32 \dst, \src0, \src1 
.endm

.macro _v_cmpx_u_u64 dst, src0, src1=
   v_cmpx_u_u64 \dst, \src0, \src1 
.endm
.macro _v_mac_f32 c:req, a:req, b:req
    v_fmac_f32 \c, \a, \b
.endmacro

/* scale global load macros */
.macro _s_load_b32 dst base offset
    s_load_dword \dst \base \offset
.endm

.macro _s_load_b64 dst base offset
    s_load_dwordx2 \dst \base \offset
.endm

.macro _s_load_b128 dst base offset
    s_load_dwordx4 \dst \base \offset
.endm

.macro _s_load_b256 dst base offset
    s_load_dwordx8 \dst \base \offset
.endm

.macro _s_load_b512 dst base offset
    s_load_dwordx16 \dst \base \offset
.endm


/* ds operation macros */
.macro _ds_load_u8 dst src offset
    ds_read_u8 \dst \src \offset
.endm

.macro _ds_load_u8_d16_hi dst src offset
    ds_read_u8_d16_hi \dst \src \offset
.endm

.macro _ds_load_u16 dst src offset
    ds_read_u16 \dst \src \offset
.endm

.macro _ds_load_u16_d16_hi dst src offset
    ds_read_u16_d16_hi \dst \src \offset
.endm

.macro _ds_load_b32 dst src offset
    ds_read_b32 \dst \src \offset
.endm

.macro _ds_load_b64 dst src offset
    ds_read_b64 \dst \src \offset
.endm

.macro _ds_load_b128 dst src offset
    ds_read_b128 \dst \src \offset
.endm

.macro _ds_store_b8 dst src offset
    ds_write_b8 \dst \src \offset
.endm

.macro _ds_store_b8_d16_hi dst src offset
    ds_write_b8_d16_hi \dst \src \offset
.endm

.macro _ds_store_b16 dst src offset
    ds_write_b16 \dst \src \offset
.endm

.macro _ds_store_b16_d16_hi dst src offset
    ds_write_b16_d16_hi \dst \src \offset
.endm

.macro _ds_store_b32 dst src offset
    ds_write_b32 \dst \src \offset
.endm

.macro _ds_store_b64 dst src offset
    ds_write_b64 \dst \src \offset
.endm

.macro _ds_store_b128 dst src offset
    ds_write_b128 \dst \src \offset
.endm

.macro _ds_load2_b32 dst src offset1 offset2
    ds_read2_b32 \dst \src \offset1 \offset2
.endm

.macro _ds_load2_b64 dst src offset1 offset2
    ds_read2_b64 \dst \src \offset1 \offset2
.endm

.macro _ds_store2_b32 dst src offset1 offset2
    ds_write2_b32 \dst \src \offset1 \offset2
.endm

.macro _ds_store2_b64 dst src offset1 offset2
    ds_write2_b64 \dst \src \offset1 \offset2
.endm


/* buffer memory operation macros */
.macro _buffer_load_b32 dst voffset base soffset offen ioffset md0 md1 md2
    buffer_load_dword \dst \voffset \base \soffset \offen \ioffset \md0 \md1 \md2
.endm

.macro _buffer_load_b64 dst voffset base soffset offen ioffset md0 md1 md2
    buffer_load_dwordx2 \dst \voffset \base \soffset \offen \ioffset \md0 \md1 \md2
.endm

.macro _buffer_load_b96 dst voffset base soffset offen ioffset md0 md1 md2
    buffer_load_dwordx3 \dst \voffset \base \soffset \offen \ioffset \md0 \md1 \md2
.endm

.macro _buffer_load_b128 dst voffset base soffset offen ioffset md0 md1 md2
    buffer_load_dwordx4 \dst \voffset \base \soffset \offen \ioffset \md0 \md1 \md2
.endm

.macro _buffer_load_d16_b16 dst voffset base soffset offen ioffset md0 md1 md2
    buffer_load_short_d16 \dst \voffset \base \soffset \offen \ioffset \md0 \md1 \md2
.endm

.macro _buffer_load_d16_hi_b16 dst voffset base soffset offen ioffset md0 md1 md2
    buffer_load_short_d16_hi \dst \voffset \base \soffset \offen \ioffset \md0 \md1 \md2
.endm

.macro _buffer_load_d16_u8 dst voffset base soffset offen ioffset md0 md1 md2
    buffer_load_ubyte_d16 \dst \voffset \base \soffset \offen \ioffset \md0 \md1 \md2
.endm

.macro _buffer_load_d16_hi_u8 dst voffset base soffset offen ioffset md0 md1 md2
    buffer_load_ubyte_d16_hi \dst \voffset \base \soffset \offen \ioffset \md0 \md1 \md2
.endm

.macro _buffer_load_u16 dst voffset base soffset offen ioffset md0 md1 md2
    buffer_load_ushort \dst \voffset \base \soffset \offen \ioffset \md0 \md1 \md2
.endm

.macro _buffer_load_b32_dtl voffset base soffset offen ioffset md0 md1 md2
    buffer_load_dword \voffset \base \soffset \offen \ioffset \md0 \md1 \md2
.endm

.macro _buffer_load_b64_dtl voffset base soffset offen ioffset md0 md1 md2
    buffer_load_dwordx2 \voffset \base \soffset \offen \ioffset \md0 \md1 \md2
.endm

.macro _buffer_load_b128_dtl voffset base soffset offen ioffset md0 md1 md2
    buffer_load_dwordx4 \voffset \base \soffset \offen \ioffset \md0 \md1 \md2
.endm

.macro _buffer_load_u16_dtl voffset base soffset offen ioffset md0 md1 md2
    buffer_load_ushort \voffset \base \soffset \offen \ioffset \md0 \md1 \md2
.endm

.macro _buffer_store_b32 src voffset base soffset offen ioffset md0 md1 md2
    buffer_store_dword \src \voffset \base \soffset \offen \ioffset \md0 \md1 \md2
.endm

.macro _buffer_store_b64 src voffset base soffset offen ioffset md0 md1 md2
    buffer_store_dwordx2 \src \voffset \base \soffset \offen \ioffset \md0 \md1 \md2
.endm

.macro _buffer_store_b96 src voffset base soffset offen ioffset md0 md1 md2
    buffer_store_dwordx3 \src \voffset \base \soffset \offen \ioffset \md0 \md1 \md2
.endm

.macro _buffer_store_b128 src voffset base soffset offen ioffset md0 md1 md2
    buffer_store_dwordx4 \src \voffset \base \soffset \offen \ioffset \md0 \md1 \md2
.endm

.macro _buffer_store_b16 src voffset base soffset offen ioffset md0 md1 md2
    buffer_store_short \src \voffset \base \soffset \offen \ioffset \md0 \md1 \md2
.endm

.macro _buffer_store_d16_hi_b16 src voffset base soffset offen ioffset md0 md1 md2
    buffer_store_short_d16_hi \src \voffset \base \soffset \offen \ioffset \md0 \md1 \md2
.endm

.macro _buffer_store_b8 src voffset base soffset offen ioffset md0 md1 md2
    buffer_store_byte \src \voffset \base \soffset \offen \ioffset \md0 \md1 \md2
.endm

.macro _buffer_store_d16_hi_b8 src voffset base soffset offen ioffset md0 md1 md2
    buffer_store_byte_d16_hi \src \voffset \base \soffset \offen \ioffset \md0 \md1 \md2
.endm

.macro _buffer_atomic_cmpswap_b32 dst voffset base soffset offen ioffset md0 md1 md2
    buffer_atomic_cmpswap \dst \voffset \base \soffset \offen \ioffset \md0 \md1 \md2
.endm

.macro _buffer_atomic_cmpswap_b64 dst voffset base soffset offen ioffset md0 md1 md2
    buffer_atomic_cmpswap_x2 \dst \voffset \base \soffset \offen \ioffset \md0 \md1 \md2
.endm


/* buffer memory operation macros */
.macro _global_load_b32 dst base src ioffset md0 md1 md2
    global_load_dword \dst \base \src \ioffset \md0 \md1 \md2
.endm

.macro _global_load_b64 dst base src ioffset md0 md1 md2
    global_load_dwordx2 \dst \base \src \ioffset \md0 \md1 \md2
.endm

.macro _global_load_b96 dst base src ioffset md0 md1 md2
    global_load_dwordx3 \dst \base \src \ioffset \md0 \md1 \md2
.endm

.macro _global_load_b128 dst base src ioffset md0 md1 md2
    global_load_dwordx4 \dst \base \src \ioffset \md0 \md1 \md2
.endm

.macro _global_load_d16_b16 dst base src ioffset md0 md1 md2
    global_load_short_d16 \dst \base \src \ioffset \md0 \md1 \md2
.endm

.macro _global_load_d16_hi_b16 dst base src ioffset md0 md1 md2
    global_load_short_d16_hi \dst \base \src \ioffset \md0 \md1 \md2
.endm

.macro _global_load_d16_u8 dst base src ioffset md0 md1 md2
    global_load_ubyte_d16 \dst \base \src \ioffset \md0 \md1 \md2
.endm

.macro _global_load_d16_hi_u8 dst base src ioffset md0 md1 md2
    global_load_ubyte_d16_hi \dst \base \src \ioffset \md0 \md1 \md2
.endm

.macro _global_load_u16 dst base src ioffset md0 md1 md2
    global_load_ushort \dst \base \src \ioffset \md0 \md1 \md2
.endm

.macro _global_store_b32 base src src2 md0 md1 md2
    global_store_dword \base \src \src2 \md0 \md1 \md2
.endm

.macro _global_store_b64 base src src2 md0 md1 md2
    global_store_dwordx2 \base \src \src2 \md0 \md1 \md2
.endm

.macro _global_store_b96 base src src2 md0 md1 md2
    global_store_dwordx3 \base \src \src2 \md0 \md1 \md2
.endm

.macro _global_store_b128 base src src2 md0 md1 md2
    global_store_dwordx4 \base \src \src2 \md0 \md1 \md2
.endm

.macro _global_store_d16_b16 base src src2 md0 md1 md2
    global_store_short \base \src \src2 \md0 \md1 \md2
.endm

.macro _global_store_d16_hi_b16 base src src2 md0 md1 md2
    global_store_short_d16_hi \base \src \src2 \md0 \md1 \md2
.endm

.macro _global_store_d16_u8 base src src2 md0 md1 md2
    global_store_ubyte_d16 \base \src \src2 \md0 \md1 \md2
.endm

.macro _global_store_d16_hi_u8 base src src2 md0 md1 md2
    global_store_ubyte_d16_hi \base \src \src2 \md0 \md1 \md2
.endm

.macro _global_store_u16 base src src2 md0 md1 md2
    global_store_ushort \base \src \src2 \md0 \md1 \md2
.endm

.macro _global_atomic_cmpswap_b32 tmp base data src ioffset md
    global_atomic_cmpswap \tmp \base \data \src \ioffset \md
.endm

.macro _global_atomic_cmpswap_b64 tmp base data src ioffset md
    global_atomic_cmpswap_x2 \tmp \base \data \src \ioffset \md
.endm


/******************************************/
/* Magic div and mod functions            */
/******************************************/
.macro V_MAGIC_DIV dstIdx:req, dividend:req, magicNumber:req, magicShift:req, magicA:req
    v_mul_hi_u32 v[\dstIdx+1], \dividend, \magicNumber
    v_mul_lo_u32 v[\dstIdx+0], \dividend, \magicA
    _v_add_u32 v[\dstIdx+0], v[\dstIdx+0], v[\dstIdx+1]
    v_lshrrev_b32 v[\dstIdx+0], \magicShift, v[\dstIdx+0]
.endm

/******************************************/
/* VGPR Assignments                       */
/******************************************/
/* ValuC range: [0-32), serializedStore enabled */
.set vgprValuC, 0
/* ValuA/B   Xn=PLR buffer idx,  In=InnerUnroll idx */
.set vgprValuA_X0_I0, 32
.set vgprValuA_X1_I0, 36
.set vgprValuA_X2_I0, 40
.set vgprValuA_X3_I0, 44
.set vgprG2LA, 70
.set vgprValuB_X0_I0, 48
.set vgprValuB_X1_I0, 52
.set vgprValuB_X2_I0, 56
.set vgprValuB_X3_I0, 60
.set vgprG2LB, 78
.set vgprLocalWriteAddrA, 64
.set vgprLocalWriteAddrB, 65
.set vgprGlobalReadOffsetA, 66
.set vgprGlobalReadOffsetB, 68
.set vgprLocalReadAddrA, 86
.set vgprLocalReadAddrB, 87
.set vgprSerial, 88
/* Num VGPR=168 */
/* Num AccVGPR=0 */

/******************************************/
/* SGPR Assignments                       */
/******************************************/
.set sgprKernArgAddress, 0 // (2)
.set sgprWorkGroup0, 2 // (1)
.set sgprWorkGroup1, 3 // (1)
.set sgprWorkGroup2, 4 // (1)
.set sgprLoopCounterL, 5 // (1)
.set sgprOrigLoopCounter, 6 // (1)
.set sgprSrdA, 8 // (4)
.set sgprSrdB, 12 // (4)
.set sgprSrdD, 16 // (4)
.set sgprSrdC, 20 // (4)
.set sgprTensor2dSizeA, 24 // (2)
.set sgprTensor2dSizeB, 26 // (2)
.set sgprAddressD, 28 // (2)
.set sgprAddressC, 30 // (2)
.set sgprAddressA, 32 // (2)
.set sgprAddressB, 34 // (2)
.set sgprAlpha, 36 // (2)
.set sgprBeta, 38 // (2)
.set sgprStridesD, 40 // (2)
.set sgprStridesC, 42 // (2)
.set sgprStridesA, 44 // (2)
.set sgprStridesB, 46 // (2)
.set sgprSizesFree, 48 // (3)
.set sgprSizesSum, 51 // (1)
.set sgprNumWorkGroups0, 52 // (1)
.set sgprNumWorkGroups1, 53 // (1)
.set sgprNumFullBlocks, 54 // (1)
.set sgprWgmRemainder1, 55 // (1)
.set sgprMagicNumberWgmRemainder1, 56 // (1)
.set sgprShadowLimitA, 0 // (2)
.set sgprShadowLimitB, 28 // (2)
.set sgprGlobalReadIncsA, 7 // (1)
.set sgprGlobalReadIncsB, 30 // (1)
/* max SGPR=60 */

/* Size Assignments */
.set sgprSizeI, sgprSizesFree+0
.set sgprSizeJ, sgprSizesFree+1
.set sgprSizeK, sgprSizesFree+2
.set sgprSizeL, sgprSizesSum+0

/* Stride Assignments */
.set constStrideD0I, 1
.set sgprStrideD1J, sgprStridesD+0
.set sgprStrideDK, sgprStridesD+1
.set constStrideC0I, 1
.set sgprStrideC1J, sgprStridesC+0
.set sgprStrideCK, sgprStridesC+1
.set constStrideAL, 1
.set sgprStrideA0I, sgprStridesA+0
.set sgprStrideAK, sgprStridesA+1
.set constStrideB1J, 1
.set sgprStrideBL, sgprStridesB+0
.set sgprStrideBK, sgprStridesB+1

.set MT0, 64
.set MT1, 64
.set DepthU, 16
.set GSU, 1
.set BpeA, 8
.set BpeALog2, 3
.set BpeB, 8
.set BpeBLog2, 3
/* Number of elements to shift-left SRD */
.set SrdShiftLeftA, 2
.set SrdShiftLeftB, 2
/* 2GB limit - set offsets to -1 to exceed this and clamp */
.set BufferLimitA, 0xffffffff
.set BufferLimitB, 0xffffffff
.set BufferOOB, 0xfffff000

/******************************************/
/* Bits 127:96 of SRD.                    */
/* hex: 0x00020000                        */
/* dst_sel_x (3b): 0                      */
/* dst_sel_y (3b): 0                      */
/* dst_sel_z (3b): 0                      */
/* dst_sel_w (3b): 0                      */
/* num_format (3b): 0                     */
/* data_format (4b): 4                    */
/* user_vm_enable (1b): 0                 */
/* user_vm_mode (1b): 0                   */
/* index_stride (2b): 0                   */
/* add_tid_enable (1b): 0                 */
/* _unusedA (3b): 0                       */
/* nv (1b): 0                             */
/* _unusedB (2b): 0                       */
/* type (2b): 0                           */
/******************************************/
.set Srd127_96, 0x00020000

/* Global Offset A */
.macro GLOBAL_OFFSET_A vgprAddr:req vgprOffsetL:req vgprOffset0I:req vgprTmp:req
v_mul_lo_u32 v[\vgprTmp+0], s[sgprStrideA0I], v[\vgprOffset0I] // mul d1 lower
_v_add_co_u32 v[\vgprAddr+0], vcc, v[\vgprOffsetL], v[\vgprTmp+0] // accumulate K lower
_v_add_u32 v[\vgprAddr+0], 0x2, v[\vgprAddr+0]     // add prepad for pointer shift
v_lshlrev_b32 v[\vgprAddr+0], 0x3, v[\vgprAddr+0]  // offset *= bytes/element
.endm

/* Global Offset B */
.macro GLOBAL_OFFSET_B vgprAddr:req vgprOffset1J:req vgprOffsetL:req vgprTmp:req
v_mul_lo_u32 v[\vgprTmp+0], s[sgprStrideBL], v[\vgprOffsetL] // mul d1 lower
_v_add_co_u32 v[\vgprAddr+0], vcc, v[\vgprOffset1J], v[\vgprTmp+0] // accumulate K lower
_v_add_u32 v[\vgprAddr+0], 0x2, v[\vgprAddr+0]     // add prepad for pointer shift
v_lshlrev_b32 v[\vgprAddr+0], 0x3, v[\vgprAddr+0]  // offset *= bytes/element
.endm

/******************************************/
/* Dynamic Scalar Divide: vQuotient=vDividend/vDivisor; vRemainder=vDividend%vDivisor; */
/******************************************/
.macro DYNAMIC_VECTOR_DIVIDE vQuotient vRemainder vDividend vDivisor vTmp0 vTmp1 sTmp
v_cvt_f32_u32 v[\vQuotient], v[\vDivisor]          // 
v_rcp_f32 v[\vQuotient], v[\vQuotient]             // 
v_mul_f32 v[\vQuotient], 0x4f800000, v[\vQuotient] // 
v_cvt_u32_f32 v[\vQuotient], v[\vQuotient]         // 
v_mul_lo_u32 v[\vRemainder], v[\vDivisor], v[\vQuotient] // 
v_mul_hi_u32 v[\vTmp0], v[\vDivisor], v[\vQuotient] // 
_v_sub_co_u32 v[\vTmp1], vcc, 0x0, v[\vRemainder]  // 
v_cmp_ne_i32 s[\sTmp:\sTmp+1], 0x0, v[\vTmp0]      // 
v_cndmask_b32 v[\vRemainder], v[\vTmp1], v[\vRemainder], s[\sTmp:\sTmp+1] // 
v_mul_hi_u32 v[\vRemainder], v[\vRemainder], v[\vQuotient] // 
_v_sub_co_u32 v[\vTmp0], vcc, v[\vQuotient], v[\vRemainder] // 
_v_add_co_u32 v[\vQuotient], vcc, v[\vQuotient], v[\vRemainder] // 
v_cndmask_b32 v[\vQuotient], v[\vQuotient], v[\vTmp0], s[\sTmp:\sTmp+1] // 
v_mul_hi_u32 v[\vQuotient], v[\vQuotient], v[\vDividend] // 
v_mul_lo_u32 v[\vRemainder], v[\vQuotient], v[\vDivisor] // 
_v_sub_co_u32 v[\vTmp0], vcc, v[\vDividend], v[\vRemainder] // 
v_cmp_ge_u32 s[\sTmp:\sTmp+1], v[\vDividend], v[\vRemainder] // 
_v_add_co_u32 v[\vRemainder], vcc, 0x1, v[\vQuotient] // 
_v_add_co_u32 v[\vTmp1], vcc, -1, v[\vQuotient]    // 
v_cmp_le_u32 vcc, v[\vDivisor], v[\vTmp0]          // 
s_and_b64 vcc, s[\sTmp:\sTmp+1], vcc               // 
v_cndmask_b32 v[\vQuotient], v[\vQuotient], v[\vRemainder], vcc // 
v_cndmask_b32 v[\vQuotient], v[\vTmp1], v[\vQuotient], s[\sTmp:\sTmp+1] // 
v_cmp_ne_i32 vcc, 0x0, v[\vDivisor]                // 
v_cndmask_b32 v[\vQuotient], -1, v[\vQuotient], vcc // final result
v_mul_lo_u32 v[\vRemainder], v[\vQuotient], v[\vDivisor] // 
_v_sub_co_u32 v[\vRemainder], vcc, v[\vDividend], v[\vRemainder] // final result
.endm


	;; [unrolled: 1-line block ×3, first 2 shown]
/******************************************/
/* Allocate Resources                     */
/******************************************/

Cijk_Alik_BjlkC_CB_MT64x64x16_MI16x16x4x1_SN_1LDSB1_APM1_AF0EM1_AF1EM1_AMAS3_ASGT_ASLT_ASAE01_ASCE01_ASEM1_BL1_BS1_CLR0_DTLA0_DTLB0_DTVA0_DVO0_EPS1_FL0_GLVWA2_GLVWB2_GRVW2_GSU1_GSUASB_GLS0_ISA90a_IU1_K1_KLA_LBSPPA128_LBSPPB0_LPA2_LPB0_LDL1_LRVW2_LDW0_FMA_MIAV1_MMFGLC_NTA0_NTB0_NTC3_NTD3_NEPBS0_NLCA1_NLCB1_ONLL1_OPLV0_PK0_PAP0_PGR2_PLR5_SIA3_SS1_SU0_SUM0_SUS0_SCIUI1_SPO1_SRVW0_SSO4_SVW2_SNLL0_TT2_32_TLDS1_UMLDSA1_UMLDSB0_USFGROn1_VAW1_VSn1_VW2_VWB1_VFLRP0_WSGRA0_WSGRB0_WG32_8_1_WGM5_preloaded: // Kernel start when preloading
s_setprio 3                                        // optimization store

/* Load Kernel Args */
_s_load_b512 s[24:39], s[sgprKernArgAddress:sgprKernArgAddress+1], 0x0 // 
_s_load_b512 s[40:55], s[sgprKernArgAddress:sgprKernArgAddress+1], 0x40 // 
_s_load_b32 s56, s[sgprKernArgAddress:sgprKernArgAddress+1], 0x80 // 
s_mov_b32 m0, 0x4400                               // LDS clamp at 17408 bytes
v_mov_b32 v[vgprSerial], v0                        // thread serial id

/******************************************/
/* Local Read Addresses                   */
/******************************************/


/* local read addresses: tile assignments a/b */

/*lr0I*/
v_and_b32 v1, 63, v[vgprSerial]                    // 0. thread id in wave: wtid = tid % wavelength(64)
v_and_b32 v0, 15, v1                               // 1. N offset: nIdx = wtid % MI_N(16)
v_lshlrev_b32 v0, 0x4, v0                          // 1. N offset: nOffset = nIdx * nStride(16)
                                                   // 2. block offset: bnIdx = bnIdx % num1DBlocks(1) is 0. do nothing
v_lshlrev_b32 v0, 0x1, v0                          // 4. apply VectorWidth: bnOffset = bnOffset * vw(2)
v_lshrrev_b32 v1, 4, v1                            // 5. K offset: kIdx = wtid / (MIN(16) * MIBB(1))
v_lshlrev_b32 v1, 0x1, v1                          // 5. K offset: lrKOffset = kIdx * mStride(2)
_v_add_u32 v0, v1, v0                              // 6. offset in wave: lrOffset = bnOffset + lrKOffset
v_lshrrev_b32 v2, 6, v[vgprSerial]                 // 7. wave offset in N dimen: wtid = tid / dividedForWaveId(64)
v_and_b32 v1, 1, v2                                // 7. wave offset in M dimen: wtid0 = wtid / num1DWaves(2)
v_lshlrev_b32 v1, 0x9, v1                          // 7. wave offset in M dimen: wOffset = wtid0 * W0Stride(512)
_v_add_u32 v0, v1, v0                              // 8. final local read offset: flrOffset = lrOffset + WOffset
/*lr1J*/
v_and_b32 v2, 63, v[vgprSerial]                    // 0. thread id in wave: wtid = tid % wavelength(64)
v_and_b32 v1, 15, v2                               // 1. N offset: nIdx = wtid % MI_N(16)
                                                   // 1. N offset: nOffset = nIdx * nStride(1) (multiplier is 1, do nothing)
                                                   // 2. block offset: bnIdx = bnIdx % num1DBlocks(1) is 0. do nothing
                                                   // 4. apply VectorWidth: bnOffset = bnOffset * vw(1) (multiplier is 1, do nothing)
v_lshrrev_b32 v2, 4, v2                            // 5. K offset: kIdx = wtid / (MIN(16) * MIBB(1))
v_lshlrev_b32 v2, 0x7, v2                          // 5. K offset: lrKOffset = kIdx * mStride(128)
_v_add_u32 v1, v2, v1                              // 6. offset in wave: lrOffset = bnOffset + lrKOffset
v_lshrrev_b32 v3, 7, v[vgprSerial]                 // 7. wave offset in N dimen: wtid = tid / dividedForWaveId(128)
v_and_b32 v2, 1, v3                                // 7. wave offset in M dimen: wtid0 = wtid / num1DWaves(2)
v_lshlrev_b32 v2, 0x4, v2                          // 7. wave offset in M dimen: wOffset = wtid0 * W0Stride(16)
_v_add_u32 v1, v2, v1                              // 8. final local read offset: flrOffset = lrOffset + WOffset


/* local read addresses: final offsets a */

v_lshlrev_b32 v[vgprLocalReadAddrA], 0x3, v0       // Final Offset: offset = (lro0)*bpe
v_lshrrev_b32 v0, 7, v[vgprLocalReadAddrA]         // Final Offset: padding 2 per block 128
v_lshlrev_b32 v0, 0x4, v0                          // Final Offset: padding 2 per block 128
_v_add_u32 v[vgprLocalReadAddrA], v0, v[vgprLocalReadAddrA] // Final Offset: add padding 2 per block 128


/* local read addresses: final offsets b */

v_lshlrev_b32 v[vgprLocalReadAddrB], 0x3, v1       // Final Offset: offset = (lro1)*bpe


/* local read addresses: declare addresses a */

/* N/A */


/* local read addresses: declare addresses b */

_v_add_co_u32 v[vgprLocalReadAddrB+0], vcc, 0x2400, v[vgprLocalReadAddrB+0] //  += LdsOffsetB (lower)


/* global read addresses: tile offset assignment a */

/* LVCA = 8 */
/* v0 = (local)groA-tile = serial/LVCA (note (wgA*MTA) will be added to SRD) */
/* v1 = groA-unroll = serial%LVCA */
v_lshrrev_b32 v0, 3, v[vgprSerial]                 // v0 = v[vgprSerial] / 8
v_and_b32 v1, 7, v[vgprSerial]                     // v1 = v[vgprSerial] % 8
/* gro-unroll *= glvw */
v_lshlrev_b32 v1, 0x1, v1                          // v1 = v1 * 2


/* global read addresses: tile offset assignment b */

/* LVCB = 32 */
/* v2 = (local)groB-tile = serial%LVCB (note (wgB*MTB) will be added to SRD) */
/* v3 = groB-unroll = serial/LVCB */
v_lshrrev_b32 v3, 5, v[vgprSerial]                 // v3 = v[vgprSerial] / 32
v_and_b32 v2, 31, v[vgprSerial]                    // v2 = v[vgprSerial] % 32
/* gro-tile *= glvw */
v_lshlrev_b32 v2, 0x1, v2                          // v2 = v2 * 2


/******************************************/
/* Local Write Addresses                  */
/******************************************/

/* lwaTileAssignmentA = v0 */

/* lwaTileAssignmentB = v2 */

/* lwaUnrollAssignmentA = v1 */

/* lwaUnrollAssignmentB = v3 */


/* local write addresses: first offset a */

v_mul_u32_u24 v[vgprLocalWriteAddrA], 0x10, v0     // lwAL**(DepthU_Compute + PAD)
_v_add_lshl_u32 v[vgprLocalWriteAddrA], v1, v[vgprLocalWriteAddrA], 0x3 // lwFOA = (lwAA + lwAL*(DepthU+PAD))*bpe
v_lshrrev_b32 v4, 7, v[vgprLocalWriteAddrA]        // padding 2 per block 128
v_lshlrev_b32 v4, 0x4, v4                          // padding 2 per block 128
_v_add_u32 v[vgprLocalWriteAddrA], v4, v[vgprLocalWriteAddrA] // add padding 2 per block 128


/* local write addresses: first offset b */

v_mul_u32_u24 v[vgprLocalWriteAddrB], 0x40, v3     // lwBL**(MTB + PAD)
_v_add_lshl_u32 v[vgprLocalWriteAddrB], v2, v[vgprLocalWriteAddrB], 0x3 // lwFOB = (lwBB + lwBL*(MT1J+PAD))*bpe
_v_add_co_u32 v[vgprLocalWriteAddrB], vcc, 0x2400, v[vgprLocalWriteAddrB] // lwFOB = lwB1J + lwBL*MT1J + LDS_OFFSET_B=1152*8


	;; [unrolled: 1-line block ×7, first 2 shown]
s_waitcnt lgkmcnt(0)                               // wait for 132 bytes of kern args
s_mov_b64 s[sgprSrdC+0:sgprSrdC+0+1], s[sgprAddressC+0:sgprAddressC+0+1] // copy addressC
s_mov_b64 s[sgprSrdD+0:sgprSrdD+0+1], s[sgprAddressD+0:sgprAddressD+0+1] // copy addressD
s_sub_u32 s[sgprSrdA+0], s[sgprAddressA+0], 16     // pre-pad to make room for possible pointer shift
s_subb_u32 s[sgprSrdA+1], s[sgprAddressA+1], 0     // pre-pad to make room for possible pointer shift
s_sub_u32 s[sgprSrdB+0], s[sgprAddressB+0], 16     // pre-pad to make room for possible pointer shift
s_subb_u32 s[sgprSrdB+1], s[sgprAddressB+1], 0     // pre-pad to make room for possible pointer shift

.set AddressD, UNDEF
.set AddressC, UNDEF
.set AddressA, UNDEF
.set AddressB, UNDEF

/* Short circuit condition if Alpha == 0, then sumDims=0 */
v_cmp_eq_f32 vcc, s[sgprAlpha], 0.0                // Alpha.real == 0.0f ?
s_cbranch_vccz label_AlphaNonZero                  // branch if Alpha.real != 0
v_cmp_eq_f32 vcc, s[sgprAlpha+1], 0.0              // Alpha.imag == 0.0f ?
s_cbranch_vccz label_AlphaNonZero                  // branch if Alpha.imag != 0
s_mov_b32 s[sgprSizesSum+0], 0x0                   // Set summation dim=0 if Alpha == 0
label_AlphaNonZero:


	;; [unrolled: 1-line block ×3, first 2 shown]
/******************************************/
/* Begin setupNewTile, isPap=False           */
/******************************************/


/* global read addresses: work-group */

/* graWorkGroup mapping */
s_mov_b32 s35, 0x1999999aL                         // magic number for WGM==5
s_mul_hi_u32 s33, s[sgprWorkGroup1], s35           // s_magic mul
s_mul_i32 s32, s[sgprWorkGroup1], s35              // s_magic mul
s_lshr_b64 s[32:33], s[32:33], 31                  // sMagicDiv
s_mul_i32 s33, s32, 5                              // quotient * non-magic divisor
s_sub_u32 s33, s[sgprWorkGroup1], s33              // WorkGroup1=remainder
s_mul_i32 s33, s33, s[sgprNumWorkGroups0]          // (wg1 % WGM)*nwg0
s_add_u32 s33, s33, s[sgprWorkGroup0]              // wgSerial = wg0 + (wg1 % WGM)*nwg1
s_cmp_ge_u32 s32, s[sgprNumFullBlocks]             // blockId >= numFullBlocks ?
s_cmov_b32 s35, s[sgprMagicNumberWgmRemainder1]    // 
s_cselect_b32 s34, s[sgprWgmRemainder1], 5         // 
s_mul_hi_u32 s3, s33, s35                          // s_magic mul
s_mul_i32 s2, s33, s35                             // s_magic mul
s_lshr_b64 s[2:3], s[2:3], 31                      // sMagicDiv
s_mul_i32 s[sgprWorkGroup1], s[sgprWorkGroup0], s34 // quotient * non-magic divisor
s_sub_u32 s[sgprWorkGroup1], s33, s[sgprWorkGroup1] // WorkGroup1=remainder
s_mul_i32 s32, s32, 5                              // blockId * WGM
s_add_u32 s[sgprWorkGroup1], s[sgprWorkGroup1], s32 // wg1 += blockId * WGM


/* global read addresses: unroll assignment a */

/* v1 */


/* global read addresses: unroll assignment b */

/* v3 */


/* global read addresses: other free assignments */

/* s[sgprWorkGroup2] */


/* global read addresses: tile offsets a */

v_mov_b32 v4, v0                                   // groA0I_0
_v_add_co_u32 v5, vcc, 32, v4                      // groA0I_1 += LSPA


/* global read addresses: tile offsets b */

v_mov_b32 v6, v2                                   // groB1J_0


/* global read addresses: unroll offsets a */

v_mov_b32 v7, v1                                   // groAL_0


/* global read addresses: unroll offsets b */

v_mov_b32 v8, v3                                   // groBL_0
_v_add_co_u32 v9, vcc, 8, v8                       // groBL_1 + LSPB


/* global read addresses: shift b */

s_mul_i32 s31, s[sgprWorkGroup1], 64               // WorkGroup[01] * MT
s_sub_u32 s31, s[sgprSizeJ], s31                   // edge = Size1J - WG*MT
s_sub_u32 s31, s31, 2                              // edge -= margin(2)
v_mov_b32 v10, s31                                 // edge vgpr = Size1J- WG*MT - margin(2)
v_min_i32 v6, v10, v6                              // offset = (offset < edge) ? offset(v6) : edge(v10)


/* global read addresses: final offsets a */

GLOBAL_OFFSET_A vgprGlobalReadOffsetA+0,  7,  4, 10 // gROA_0_0_0_0
GLOBAL_OFFSET_A vgprGlobalReadOffsetA+1,  7,  5, 10 // gROA_0_0_1_0


/* global read addresses: final offsets b */

GLOBAL_OFFSET_B vgprGlobalReadOffsetB+0,  6,  8, 10 // gROB_0_0_0_0
GLOBAL_OFFSET_B vgprGlobalReadOffsetB+1,  6,  9, 10 // gROB_0_0_1_0


/* global read addresses: addresses a */

/* max read offset = size[n] * stride[n-1] */
s_mul_hi_u32 s35, s[sgprWorkGroup0], 64            // WorkGroup[01] * MT
s_mul_i32 s34, s[sgprWorkGroup0], 64               // WorkGroup[01] * MT
s_mul_hi_u32 s35, s34, s[sgprStrideA0I]            // tlu=0, scaled tile-offset by stride
s_mul_i32 s34, s34, s[sgprStrideA0I]               // tlu=0, scaled tile-offset by stride
s_sub_u32 s[sgprShadowLimitA+0], s[sgprTensor2dSizeA], s34 // sub tileStart
s_subb_u32 s[sgprShadowLimitA+1], s[sgprTensor2dSizeA+1], s35 // sub tileStart
s_lshl_b64 s[sgprShadowLimitA:sgprShadowLimitA+1], s[sgprShadowLimitA:sgprShadowLimitA+1], 0x3 // Set limit to use bytes
s_add_u32 s[sgprShadowLimitA+0], s[sgprShadowLimitA+0], 16 // extend limit for pre-pad
s_addc_u32 s[sgprShadowLimitA+1], s[sgprShadowLimitA+1], 0 // extend limit for pre-pad
s_cmp_eq_u32 s[sgprShadowLimitA+1], 0              // are we within 2^32?
s_cselect_b32 s[sgprSrdA+2], s[sgprShadowLimitA+0], BufferLimitA // Move shadow to real if we are within 2^32
s_mul_hi_u32 s33, s[sgprStrideAK], s[sgprWorkGroup2] // Stride*WG
s_mul_i32 s32, s[sgprStrideAK], s[sgprWorkGroup2]  // Stride*WG
s_add_u32 s34, s34, s32                            // accum wg term to tilestart
s_addc_u32 s35, s35, s33                           // accum wg term to tilestart
s_lshl_b64 s[34:35], s[34:35], 0x3                 // tileStart *= BPE
s_add_u32 s[sgprSrdA+0], s[sgprSrdA+0], s34        // SRD base = Address+ tileStart0
s_addc_u32 s[sgprSrdA+1], s[sgprSrdA+1], s35       // SRD base = Address+ tileStart1
s_mov_b32 s[sgprSrdA+3], Srd127_96                 // Set bits 127_96 in SRD


/* global read addresses: addresses b */

/* max read offset = size[n] * stride[n-1] */
s_mul_hi_u32 s35, s[sgprWorkGroup1], 64            // WorkGroup[01] * MT
s_mul_i32 s34, s[sgprWorkGroup1], 64               // WorkGroup[01] * MT
s_sub_u32 s[sgprShadowLimitB+0], s[sgprTensor2dSizeB], s34 // sub tileStart
s_subb_u32 s[sgprShadowLimitB+1], s[sgprTensor2dSizeB+1], s35 // sub tileStart
s_lshl_b64 s[sgprShadowLimitB:sgprShadowLimitB+1], s[sgprShadowLimitB:sgprShadowLimitB+1], 0x3 // Set limit to use bytes
s_add_u32 s[sgprShadowLimitB+0], s[sgprShadowLimitB+0], 16 // extend limit for pre-pad
s_addc_u32 s[sgprShadowLimitB+1], s[sgprShadowLimitB+1], 0 // extend limit for pre-pad
s_cmp_eq_u32 s[sgprShadowLimitB+1], 0              // are we within 2^32?
s_cselect_b32 s[sgprSrdB+2], s[sgprShadowLimitB+0], BufferLimitB // Move shadow to real if we are within 2^32
s_mul_hi_u32 s33, s[sgprStrideBK], s[sgprWorkGroup2] // Stride*WG
s_mul_i32 s32, s[sgprStrideBK], s[sgprWorkGroup2]  // Stride*WG
s_add_u32 s34, s34, s32                            // accum wg term to tilestart
s_addc_u32 s35, s35, s33                           // accum wg term to tilestart
s_lshl_b64 s[34:35], s[34:35], 0x3                 // tileStart *= BPE
s_add_u32 s[sgprSrdB+0], s[sgprSrdB+0], s34        // SRD base = Address+ tileStart0
s_addc_u32 s[sgprSrdB+1], s[sgprSrdB+1], s35       // SRD base = Address+ tileStart1
s_mov_b32 s[sgprSrdB+3], Srd127_96                 // Set bits 127_96 in SRD


/* global read addresses: increments a */

s_mov_b32 s[sgprGlobalReadIncsA+0], DepthU*BpeA    // incrA (unrollIdx)


/* global read addresses: increments b */

s_mul_i32 s[sgprGlobalReadIncsB+0], DepthU*BpeB, s[sgprStrideBL] // incrB unrollIdx)

/* declare loop num iterations */


s_lshr_b32 s[sgprLoopCounterL], s[sgprSizesSum+0], 4 // s[sgprLoopCounterL] = s[sgprSizesSum+0] / 16
s_mov_b32 s[sgprOrigLoopCounter], s[sgprLoopCounterL] // copy loop counter

/* local read addresses: init pointers a */


/* localReadInitPointers */

/* local read addresses: init pointers b */


/* localReadInitPointers */


/* prefetch: global -> local */

s_cmp_eq_u32 s[sgprLoopCounterL], 0                // at last iteration?
s_setprio 0                                        // optimization store
s_cbranch_scc1 ShadowInitStart_10                  // skip to ShadowInitStart iter b/c numIter==0


_buffer_load_b128 v[vgprG2LA+0:vgprG2LA+0+3], v[vgprGlobalReadOffsetA+0], s[sgprSrdA:sgprSrdA+3], 0, offen offset:0 // G -> Reg 0_0_0_0
_buffer_load_b128 v[vgprG2LA+4:vgprG2LA+4+3], v[vgprGlobalReadOffsetA+1], s[sgprSrdA:sgprSrdA+3], 0, offen offset:0 // G -> Reg 0_0_1_0


_buffer_load_b128 v[vgprG2LB+0:vgprG2LB+0+3], v[vgprGlobalReadOffsetB+0], s[sgprSrdB:sgprSrdB+3], 0, offen offset:0 // G -> Reg 0_0_0_0
_buffer_load_b128 v[vgprG2LB+4:vgprG2LB+4+3], v[vgprGlobalReadOffsetB+1], s[sgprSrdB:sgprSrdB+3], 0, offen offset:0 // G -> Reg 0_0_1_0


/* global read inc A loopL */
s_add_u32 s[sgprSrdA+0], s[sgprSrdA+0], s[sgprGlobalReadIncsA+0] // gra SRD += inc(lower)
s_addc_u32  s[sgprSrdA+1], s[sgprSrdA+1], 0        // gra SRD += inc(upper)
s_sub_u32 s[sgprShadowLimitA+0], s[sgprShadowLimitA+0], s[sgprGlobalReadIncsA+0] // limit -= inc)
s_subb_u32 s[sgprShadowLimitA+1], s[sgprShadowLimitA+1], 0 // limit -= inc)
s_cmp_eq_u32 s[sgprShadowLimitA+1], 0              // are we within 2^32?
s_cmov_b32 s[sgprSrdA+2], s[sgprShadowLimitA+0]    // Move shadow to real if we are within 2^32

/* global read inc B loopL */
s_add_u32 s[sgprSrdB+0], s[sgprSrdB+0], s[sgprGlobalReadIncsB+0] // gra SRD += inc(lower)
s_addc_u32  s[sgprSrdB+1], s[sgprSrdB+1], 0        // gra SRD += inc(upper)
s_sub_u32 s[sgprShadowLimitB+0], s[sgprShadowLimitB+0], s[sgprGlobalReadIncsB+0] // limit -= inc)
s_subb_u32 s[sgprShadowLimitB+1], s[sgprShadowLimitB+1], 0 // limit -= inc)
s_cmp_eq_u32 s[sgprShadowLimitB+1], 0              // are we within 2^32?
s_cmov_b32 s[sgprSrdB+2], s[sgprShadowLimitB+0]    // Move shadow to real if we are within 2^32


/******************************************/
/* End setupNewTile, isPap=False             */
/******************************************/

ShadowInitStart_10: // 

s_mov_b32 s[sgprSrdD+2], BufferOOB                 // 
s_mov_b32 s[sgprSrdD+3], Srd127_96                 // Set bits 127_96 in post-loop SRD

s_mov_b32 s[sgprSrdC+2], BufferOOB                 // 
s_mov_b32 s[sgprSrdC+3], Srd127_96                 // Set bits 127_96 in post-loop SRD


s_mul_i32 s34, MT1, s[sgprWorkGroup1]              // <- wg1*MT1
s_mul_hi_u32 s33, s34, s[sgprStrideC1J]            // CScale s34 by Stride
s_mul_i32 s32, s34, s[sgprStrideC1J]               // CScale s34 by Stride
s_lshl_b64 s[32:33], s[32:33], 3                   // scale by bpe
s_add_u32 s[sgprSrdC+0], s[sgprSrdC+0], s32        // add lo to SRD
s_addc_u32 s[sgprSrdC+1], s[sgprSrdC+1], s33       // add hi to SRD
s_mul_hi_u32 s33, s34, s[sgprStrideD1J]            // Scale s34 by Stride
s_mul_i32 s32, s34, s[sgprStrideD1J]               // Scale s34 by Stride
s_lshl_b64 s[32:33], s[32:33], 3                   // scale by bpe
s_add_u32 s[sgprSrdD+0], s[sgprSrdD+0], s32        // add lo to SRD
s_addc_u32 s[sgprSrdD+1], s[sgprSrdD+1], s33       // add hi to SRD

s_mul_hi_u32 s33, s[sgprWorkGroup2], s[sgprStrideCK] // CScale s[sgprWorkGroup2] by Stride
s_mul_i32 s32, s[sgprWorkGroup2], s[sgprStrideCK]  // CScale s[sgprWorkGroup2] by Stride
s_lshl_b64 s[32:33], s[32:33], 3                   // scale by bpe
s_add_u32 s[sgprSrdC+0], s[sgprSrdC+0], s32        // add lo to SRD
s_addc_u32 s[sgprSrdC+1], s[sgprSrdC+1], s33       // add hi to SRD
s_mul_hi_u32 s33, s[sgprWorkGroup2], s[sgprStrideDK] // Scale s[sgprWorkGroup2] by Stride
s_mul_i32 s32, s[sgprWorkGroup2], s[sgprStrideDK]  // Scale s[sgprWorkGroup2] by Stride
s_lshl_b64 s[32:33], s[32:33], 3                   // scale by bpe
s_add_u32 s[sgprSrdD+0], s[sgprSrdD+0], s32        // add lo to SRD
s_addc_u32 s[sgprSrdD+1], s[sgprSrdD+1], s33       // add hi to SRD


	;; [unrolled: 1-line block ×3, first 2 shown]
/* initC: remove C-tile 0-32 from pool */

/* initC: remove AB-tile 32-64 from pool */
v_mov_b32 v[vgprValuC+0], 0x0                      // initC
v_mov_b32 v[vgprValuC+1], 0x0                      // initC
	;; [unrolled: 1-line block ×10, first 2 shown]
v_mov_b32 v[vgprValuC+10], 0x0                     // initC
v_mov_b32 v[vgprValuC+11], 0x0                     // initC
	;; [unrolled: 1-line block ×22, first 2 shown]

s_cmp_eq_u32 s[sgprLoopCounterL], 0                // at last iteration?

/* after InitC, skip to end of prefetch last iter if numIter==0 */
s_cbranch_scc0 label_NoBranch_11                   // Only branch on scc1
s_getpc_B64 s[32:33]                               // addr of next instr
s_add_i32 s34, PrefetchGlobalLastIterEnd_5, 0x4    // target branch offset
s_add_u32 s32, s32, s34                            // add target branch offset
s_addc_u32 s33, s33, 0                             // add high and carry
s_setpc_b64 s[32:33]                               // branch to PrefetchGlobalLastIterEnd_5
label_NoBranch_11:

s_waitcnt vmcnt(0)                                 // lgkmcnt=-1 vmcnt=0 8wait for global read


/* local write a */
_ds_store_b128 v[vgprLocalWriteAddrA], v[vgprG2LA+0:vgprG2LA+0+3] offset:0 // lwoA_0_0_0_0 = (0*LSCA)*(MT0I+PAD) + (0*LSPA) = 0
_ds_store_b128 v[vgprLocalWriteAddrA], v[vgprG2LA+4:vgprG2LA+4+3] offset:4608 // lwoA_0_0_1_0 = (0*LSCA)*(MT0I+PAD) + (1*LSPA) = 4608

/* local write b */
_ds_store_b128 v[vgprLocalWriteAddrB], v[vgprG2LB+0:vgprG2LB+0+3] offset:0 // lwoB_0_0_0_0 = (0*LSCB) + (0*LSPB)(*MT1J+PAD) = 0
_ds_store_b128 v[vgprLocalWriteAddrB], v[vgprG2LB+4:vgprG2LB+4+3] offset:4096 // lwoB_0_0_1_0 = (0*LSCB) + (1*LSPB)(*MT1J+PAD) = 4096


/* local write swap a */


	;; [unrolled: 1-line block ×3, first 2 shown]
/* local write swap b */


	;; [unrolled: 1-line block ×4, first 2 shown]
s_cmp_eq_u32 s[sgprLoopCounterL] 0x1               // PGR=2 but only 1 loop
s_cbranch_scc1 label_0012                          // PGR=2 but only 1 loop


_buffer_load_b128 v[vgprG2LA+0:vgprG2LA+0+3], v[vgprGlobalReadOffsetA+0], s[sgprSrdA:sgprSrdA+3], 0, offen offset:0 // G -> Reg 0_0_0_0
_buffer_load_b128 v[vgprG2LA+4:vgprG2LA+4+3], v[vgprGlobalReadOffsetA+1], s[sgprSrdA:sgprSrdA+3], 0, offen offset:0 // G -> Reg 0_0_1_0


_buffer_load_b128 v[vgprG2LB+0:vgprG2LB+0+3], v[vgprGlobalReadOffsetB+0], s[sgprSrdB:sgprSrdB+3], 0, offen offset:0 // G -> Reg 0_0_0_0
_buffer_load_b128 v[vgprG2LB+4:vgprG2LB+4+3], v[vgprGlobalReadOffsetB+1], s[sgprSrdB:sgprSrdB+3], 0, offen offset:0 // G -> Reg 0_0_1_0

label_0012:                                        // 

s_waitcnt lgkmcnt(0)                               // lgkmcnt=0 vmcnt=-10prefetch wait for local write

// Skip force waitcnt0
s_barrier //


/* local read prefetch a */

_ds_load_b128 v[vgprValuA_X0_I0+0:vgprValuA_X0_I0+0+3], v[vgprLocalReadAddrA] offset:0 // L -> Reg lro=0 swapByteOffset=0 ti=64 vIdx=0 rIdx=0 oIdx=0 buffer=0 iui=0
_ds_load_b128 v[vgprValuA_X0_I0+4:vgprValuA_X0_I0+4+3], v[vgprLocalReadAddrA] offset:144 // L -> Reg lro=0 swapByteOffset=0 ti=64 vIdx=0 rIdx=0 oIdx=0 buffer=0 iui=0


/* local read prefetch b */

_ds_load_b64 v[vgprValuB_X0_I0+0:vgprValuB_X0_I0+0+1], v[vgprLocalReadAddrB] offset:0 // L -> Reg lro=0 swapByteOffset=0 ti=32 vIdx=0 rIdx=0 oIdx=0 buffer=0 iui=0
_ds_load_b64 v[vgprValuB_X0_I0+2:vgprValuB_X0_I0+2+1], v[vgprLocalReadAddrB] offset:256 // L -> Reg lro=0 swapByteOffset=0 ti=32 vIdx=1 rIdx=0 oIdx=0 buffer=0 iui=0


/* local read inc a */

/* N/A, lro->8 */
/* self.localReadDoCntA 1 self.localReadDoCntB 1 */


/* local read inc b */

/* N/A, lro->64 */
/* self.localReadDoCntA 1 self.localReadDoCntB 1 */


	;; [unrolled: 1-line block ×3, first 2 shown]
/******************************************/
/* Unrolled Loop(s) - Begin               */
/******************************************/

openLoopL_13:
s_cmp_eq_u32 s[sgprLoopCounterL], 0x1              // LoopCounterL < EndCounter
s_cbranch_scc1 label_0014                          // PGR=2 but only 1 loop, toPGR1
s_cmp_le_u32 s[sgprLoopCounterL], 0x2              // LoopCounterL < EndCounter
s_cbranch_scc1 LoopEndL_evenexit_4                 // do not enter LoopL
LoopBeginL_1:


/******************************************/
/* Unrolled Loop 1/2 - Begin              */
/******************************************/

label_0015: // LoopCopy1 


/* Begin Each Unroll: Check VGPR.checkin for INT8 LW */


	;; [unrolled: 1-line block ×3, first 2 shown]
/* iter 0 */

/*  grEndMfmaIndex:4, lwStartMfmaIndex:12, lwEndMfmaIndex:55  */
/*  numMfmaForLR:6, barrierMfmaIndex:57, LocalWritePerMfma:0.070 */
/*  mfmaIndex:0  */
s_waitcnt lgkmcnt(0)                               // lgkmcnt=0 vmcnt=-1wait for prior local read local write old=0, new=0 newLW=0 newLR=0
v_add_f32 v89, -v[vgprValuA_X0_I0+0+0+0], 0        // Ar=-Ar
v_mfma_f32_16x16x4f32 v[0+0:3+0], v[vgprValuB_X0_I0+0+0+0], v[vgprValuA_X0_I0+0+0+0], v[0:3]
 // Cr += Ar*Br
/*  mfmaIndex:1  */
_ds_load_b128 v[vgprValuA_X2_I0+0:vgprValuA_X2_I0+0+3], v[vgprLocalReadAddrA] offset:64 // L -> Reg lro=8 swapByteOffset=0 ti=64 vIdx=0 rIdx=0 oIdx=0 buffer=2 iui=0

/* global read inc A loopL */
s_add_u32 s[sgprSrdA+0], s[sgprSrdA+0], s[sgprGlobalReadIncsA+0] // gra SRD += inc(lower)
s_addc_u32  s[sgprSrdA+1], s[sgprSrdA+1], 0        // gra SRD += inc(upper)
s_sub_u32 s[sgprShadowLimitA+0], s[sgprShadowLimitA+0], s[sgprGlobalReadIncsA+0] // limit -= inc)
v_mfma_f32_16x16x4f32 v[16+0:19+0], v[vgprValuB_X0_I0+0+0+0], v[vgprValuA_X0_I0+0+0+0+1], v[16:19]
 // Ci += Ai*Br
/*  mfmaIndex:2  */
_ds_load_b64 v[vgprValuB_X1_I0+0:vgprValuB_X1_I0+0+1], v[vgprLocalReadAddrB] offset:512 // L -> Reg lro=64 swapByteOffset=0 ti=32 vIdx=0 rIdx=0 oIdx=0 buffer=1 iui=0
s_subb_u32 s[sgprShadowLimitA+1], s[sgprShadowLimitA+1], 0 // limit -= inc)
s_cmp_eq_u32 s[sgprShadowLimitA+1], 0              // are we within 2^32?
s_cmov_b32 s[sgprSrdA+2], s[sgprShadowLimitA+0]    // Move shadow to real if we are within 2^32
v_mfma_f32_16x16x4f32 v[0+0:3+0], v[vgprValuB_X0_I0+0+0+0+1], v[vgprValuA_X0_I0+0+0+0+1], v[0:3]
 // Cr += Ai*Bi
/*  mfmaIndex:3  */
_ds_load_b128 v[vgprValuA_X2_I0+4:vgprValuA_X2_I0+4+3], v[vgprLocalReadAddrA] offset:208 // L -> Reg lro=8 swapByteOffset=0 ti=64 vIdx=0 rIdx=0 oIdx=0 buffer=2 iui=0

/* global read inc B loopL */
s_add_u32 s[sgprSrdB+0], s[sgprSrdB+0], s[sgprGlobalReadIncsB+0] // gra SRD += inc(lower)
s_addc_u32  s[sgprSrdB+1], s[sgprSrdB+1], 0        // gra SRD += inc(upper)
s_sub_u32 s[sgprShadowLimitB+0], s[sgprShadowLimitB+0], s[sgprGlobalReadIncsB+0] // limit -= inc)
v_mfma_f32_16x16x4f32 v[16+0:19+0], v[vgprValuB_X0_I0+0+0+0+1], v89, v[16:19]
 // Ci += -Ar*Bi
/*  mfmaIndex:4  */
_ds_load_b64 v[vgprValuB_X1_I0+2:vgprValuB_X1_I0+2+1], v[vgprLocalReadAddrB] offset:768 // L -> Reg lro=64 swapByteOffset=0 ti=32 vIdx=1 rIdx=0 oIdx=0 buffer=1 iui=0
/* localReadsVacancy: latencyLeft 3 */
_ds_load_b64 v[vgprValuB_X2_I0+0:vgprValuB_X2_I0+0+1], v[vgprLocalReadAddrB] offset:4096 // L -> Reg lro=512 swapByteOffset=0 ti=32 vIdx=0 rIdx=0 oIdx=0 buffer=2 iui=0
s_subb_u32 s[sgprShadowLimitB+1], s[sgprShadowLimitB+1], 0 // limit -= inc)
s_cmp_eq_u32 s[sgprShadowLimitB+1], 0              // are we within 2^32?
s_cmov_b32 s[sgprSrdB+2], s[sgprShadowLimitB+0]    // Move shadow to real if we are within 2^32
v_mfma_f32_16x16x4f32 v[8+0:11+0], v[vgprValuB_X0_I0+2+0+0], v[vgprValuA_X0_I0+0+0+0], v[8:11]
 // Cr += Ar*Br
/*  mfmaIndex:5  */
/* localReadsVacancy: latencyLeft 5 */
_ds_load_b64 v[vgprValuB_X2_I0+2:vgprValuB_X2_I0+2+1], v[vgprLocalReadAddrB] offset:4352 // L -> Reg lro=512 swapByteOffset=0 ti=32 vIdx=1 rIdx=0 oIdx=0 buffer=2 iui=0
_ds_load_b64 v[vgprValuB_X3_I0+0:vgprValuB_X3_I0+0+1], v[vgprLocalReadAddrB] offset:4608 // L -> Reg lro=576 swapByteOffset=0 ti=32 vIdx=0 rIdx=0 oIdx=0 buffer=3 iui=0
v_mfma_f32_16x16x4f32 v[24+0:27+0], v[vgprValuB_X0_I0+2+0+0], v[vgprValuA_X0_I0+0+0+0+1], v[24:27]
 // Ci += Ai*Br
/*  mfmaIndex:6  */
/* localReadsVacancy: latencyLeft 5 */
_ds_load_b64 v[vgprValuB_X3_I0+2:vgprValuB_X3_I0+2+1], v[vgprLocalReadAddrB] offset:4864 // L -> Reg lro=576 swapByteOffset=0 ti=32 vIdx=1 rIdx=0 oIdx=0 buffer=3 iui=0
v_mfma_f32_16x16x4f32 v[8+0:11+0], v[vgprValuB_X0_I0+2+0+0+1], v[vgprValuA_X0_I0+0+0+0+1], v[8:11]
 // Cr += Ai*Bi
/*  mfmaIndex:7  */
/* localReadsVacancy: latencyLeft 5 */
v_mfma_f32_16x16x4f32 v[24+0:27+0], v[vgprValuB_X0_I0+2+0+0+1], v89, v[24:27]
 // Ci += -Ar*Bi
/*  mfmaIndex:8  */
/* localReadsVacancy: latencyLeft 5 */
v_add_f32 v89, -v[vgprValuA_X0_I0+4+0+0], 0        // Ar=-Ar
v_mfma_f32_16x16x4f32 v[4+0:7+0], v[vgprValuB_X0_I0+0+0+0], v[vgprValuA_X0_I0+4+0+0], v[4:7]
 // Cr += Ar*Br
/*  mfmaIndex:9  */
/* localReadsVacancy: latencyLeft 5 */
v_mfma_f32_16x16x4f32 v[20+0:23+0], v[vgprValuB_X0_I0+0+0+0], v[vgprValuA_X0_I0+4+0+0+1], v[20:23]
 // Ci += Ai*Br
/*  mfmaIndex:10  */
/* localReadsVacancy: latencyLeft 5 */
v_mfma_f32_16x16x4f32 v[4+0:7+0], v[vgprValuB_X0_I0+0+0+0+1], v[vgprValuA_X0_I0+4+0+0+1], v[4:7]
 // Cr += Ai*Bi
/*  mfmaIndex:11  */
/* localReadsVacancy: latencyLeft 5 */
/* 1 LDS buffer: read-sync-write */
s_waitcnt lgkmcnt(0)                               // 
s_barrier                                          // 
v_mfma_f32_16x16x4f32 v[20+0:23+0], v[vgprValuB_X0_I0+0+0+0+1], v89, v[20:23]
 // Ci += -Ar*Bi
/*  mfmaIndex:12  */
s_setprio 3                                        // store optimization
/* sched write - iter 0 writesPerItem=1 */
s_waitcnt vmcnt(0)                                 // lgkmcnt=-1 vmcnt=0wait for global read before writing to local
_ds_store_b128 v[vgprLocalWriteAddrA], v[vgprG2LA+0:vgprG2LA+0+3] offset:0 // lwoA_0_0_0_0 = (0*LSCA)*(MT0I+PAD) + (0*LSPA) = 0
v_mfma_f32_16x16x4f32 v[12+0:15+0], v[vgprValuB_X0_I0+2+0+0], v[vgprValuA_X0_I0+4+0+0], v[12:15]
 // Cr += Ar*Br
/*  mfmaIndex:13  */
_buffer_load_b128 v[vgprG2LA+0:vgprG2LA+0+3], v[vgprGlobalReadOffsetA+0], s[sgprSrdA:sgprSrdA+3], 0, offen offset:0 // G -> Reg 0_0_0_0
v_mfma_f32_16x16x4f32 v[28+0:31+0], v[vgprValuB_X0_I0+2+0+0], v[vgprValuA_X0_I0+4+0+0+1], v[28:31]
 // Ci += Ai*Br
/*  mfmaIndex:14  */
v_mfma_f32_16x16x4f32 v[12+0:15+0], v[vgprValuB_X0_I0+2+0+0+1], v[vgprValuA_X0_I0+4+0+0+1], v[12:15]
 // Cr += Ai*Bi
/*  mfmaIndex:15  */
v_mfma_f32_16x16x4f32 v[28+0:31+0], v[vgprValuB_X0_I0+2+0+0+1], v89, v[28:31]
 // Ci += -Ar*Bi
/* numPrefetchIter=0 */
/* dataAtIterA=-1 numReadsIterA=1 skipReadsIterA=1 readsPerIterA=2 */
/* dataAtIterB=-1 numReadsIterB=1 skipReadsIterB=1 readsPerIterB=2 */


/* iter 1 */

/*  grEndMfmaIndex:4, lwStartMfmaIndex:12, lwEndMfmaIndex:55  */
/*  numMfmaForLR:6, barrierMfmaIndex:57, LocalWritePerMfma:0.070 */
/*  mfmaIndex:16  */
v_add_f32 v89, -v[vgprValuA_X0_I0+0+2+0], 0        // Ar=-Ar
v_mfma_f32_16x16x4f32 v[0+0:3+0], v[vgprValuB_X1_I0+0+0+0], v[vgprValuA_X0_I0+0+2+0], v[0:3]
 // Cr += Ar*Br
/*  mfmaIndex:17  */
v_mfma_f32_16x16x4f32 v[16+0:19+0], v[vgprValuB_X1_I0+0+0+0], v[vgprValuA_X0_I0+0+2+0+1], v[16:19]
 // Ci += Ai*Br
/*  mfmaIndex:18  */
v_mfma_f32_16x16x4f32 v[0+0:3+0], v[vgprValuB_X1_I0+0+0+0+1], v[vgprValuA_X0_I0+0+2+0+1], v[0:3]
 // Cr += Ai*Bi
/*  mfmaIndex:19  */
v_mfma_f32_16x16x4f32 v[16+0:19+0], v[vgprValuB_X1_I0+0+0+0+1], v89, v[16:19]
 // Ci += -Ar*Bi
/*  mfmaIndex:20  */
v_mfma_f32_16x16x4f32 v[8+0:11+0], v[vgprValuB_X1_I0+2+0+0], v[vgprValuA_X0_I0+0+2+0], v[8:11]
 // Cr += Ar*Br
/*  mfmaIndex:21  */
v_mfma_f32_16x16x4f32 v[24+0:27+0], v[vgprValuB_X1_I0+2+0+0], v[vgprValuA_X0_I0+0+2+0+1], v[24:27]
 // Ci += Ai*Br
/*  mfmaIndex:22  */
v_mfma_f32_16x16x4f32 v[8+0:11+0], v[vgprValuB_X1_I0+2+0+0+1], v[vgprValuA_X0_I0+0+2+0+1], v[8:11]
 // Cr += Ai*Bi
/*  mfmaIndex:23  */
v_mfma_f32_16x16x4f32 v[24+0:27+0], v[vgprValuB_X1_I0+2+0+0+1], v89, v[24:27]
 // Ci += -Ar*Bi
/*  mfmaIndex:24  */
v_add_f32 v89, -v[vgprValuA_X0_I0+4+2+0], 0        // Ar=-Ar
v_mfma_f32_16x16x4f32 v[4+0:7+0], v[vgprValuB_X1_I0+0+0+0], v[vgprValuA_X0_I0+4+2+0], v[4:7]
 // Cr += Ar*Br
/*  mfmaIndex:25  */
v_mfma_f32_16x16x4f32 v[20+0:23+0], v[vgprValuB_X1_I0+0+0+0], v[vgprValuA_X0_I0+4+2+0+1], v[20:23]
 // Ci += Ai*Br
/*  mfmaIndex:26  */
/* sched write - iter 1 writesPerItem=1 */
s_waitcnt vmcnt(0)                                 // lgkmcnt=-1 vmcnt=0wait for global read before writing to local
_ds_store_b128 v[vgprLocalWriteAddrA], v[vgprG2LA+4:vgprG2LA+4+3] offset:4608 // lwoA_0_0_1_0 = (0*LSCA)*(MT0I+PAD) + (1*LSPA) = 4608
v_mfma_f32_16x16x4f32 v[4+0:7+0], v[vgprValuB_X1_I0+0+0+0+1], v[vgprValuA_X0_I0+4+2+0+1], v[4:7]
 // Cr += Ai*Bi
/*  mfmaIndex:27  */
_buffer_load_b128 v[vgprG2LA+4:vgprG2LA+4+3], v[vgprGlobalReadOffsetA+1], s[sgprSrdA:sgprSrdA+3], 0, offen offset:0 // G -> Reg 0_0_1_0
v_mfma_f32_16x16x4f32 v[20+0:23+0], v[vgprValuB_X1_I0+0+0+0+1], v89, v[20:23]
 // Ci += -Ar*Bi
/*  mfmaIndex:28  */
v_mfma_f32_16x16x4f32 v[12+0:15+0], v[vgprValuB_X1_I0+2+0+0], v[vgprValuA_X0_I0+4+2+0], v[12:15]
 // Cr += Ar*Br
/*  mfmaIndex:29  */
v_mfma_f32_16x16x4f32 v[28+0:31+0], v[vgprValuB_X1_I0+2+0+0], v[vgprValuA_X0_I0+4+2+0+1], v[28:31]
 // Ci += Ai*Br
/*  mfmaIndex:30  */
v_mfma_f32_16x16x4f32 v[12+0:15+0], v[vgprValuB_X1_I0+2+0+0+1], v[vgprValuA_X0_I0+4+2+0+1], v[12:15]
 // Cr += Ai*Bi
/*  mfmaIndex:31  */
v_mfma_f32_16x16x4f32 v[28+0:31+0], v[vgprValuB_X1_I0+2+0+0+1], v89, v[28:31]
 // Ci += -Ar*Bi


/* iter 2 (reset local read pointers iteration)  (swap local read pointers iteration)  */

/*  grEndMfmaIndex:4, lwStartMfmaIndex:12, lwEndMfmaIndex:55  */
/*  numMfmaForLR:6, barrierMfmaIndex:57, LocalWritePerMfma:0.070 */
/*  mfmaIndex:32  */
v_add_f32 v89, -v[vgprValuA_X2_I0+0+0+0], 0        // Ar=-Ar
v_mfma_f32_16x16x4f32 v[0+0:3+0], v[vgprValuB_X2_I0+0+0+0], v[vgprValuA_X2_I0+0+0+0], v[0:3]
 // Cr += Ar*Br
/*  mfmaIndex:33  */
v_mfma_f32_16x16x4f32 v[16+0:19+0], v[vgprValuB_X2_I0+0+0+0], v[vgprValuA_X2_I0+0+0+0+1], v[16:19]
 // Ci += Ai*Br
/*  mfmaIndex:34  */
v_mfma_f32_16x16x4f32 v[0+0:3+0], v[vgprValuB_X2_I0+0+0+0+1], v[vgprValuA_X2_I0+0+0+0+1], v[0:3]
 // Cr += Ai*Bi
/*  mfmaIndex:35  */
v_mfma_f32_16x16x4f32 v[16+0:19+0], v[vgprValuB_X2_I0+0+0+0+1], v89, v[16:19]
 // Ci += -Ar*Bi
/*  mfmaIndex:36  */
v_mfma_f32_16x16x4f32 v[8+0:11+0], v[vgprValuB_X2_I0+2+0+0], v[vgprValuA_X2_I0+0+0+0], v[8:11]
 // Cr += Ar*Br
/*  mfmaIndex:37  */
v_mfma_f32_16x16x4f32 v[24+0:27+0], v[vgprValuB_X2_I0+2+0+0], v[vgprValuA_X2_I0+0+0+0+1], v[24:27]
 // Ci += Ai*Br
/*  mfmaIndex:38  */
v_mfma_f32_16x16x4f32 v[8+0:11+0], v[vgprValuB_X2_I0+2+0+0+1], v[vgprValuA_X2_I0+0+0+0+1], v[8:11]
 // Cr += Ai*Bi
/*  mfmaIndex:39  */
v_mfma_f32_16x16x4f32 v[24+0:27+0], v[vgprValuB_X2_I0+2+0+0+1], v89, v[24:27]
 // Ci += -Ar*Bi
/*  mfmaIndex:40  */
/* sched write - iter 2 writesPerItem=1 */
s_waitcnt vmcnt(0)                                 // lgkmcnt=-1 vmcnt=0wait for global read before writing to local
_ds_store_b128 v[vgprLocalWriteAddrB], v[vgprG2LB+0:vgprG2LB+0+3] offset:0 // lwoB_0_0_0_0 = (0*LSCB) + (0*LSPB)(*MT1J+PAD) = 0
v_add_f32 v89, -v[vgprValuA_X2_I0+4+0+0], 0        // Ar=-Ar
v_mfma_f32_16x16x4f32 v[4+0:7+0], v[vgprValuB_X2_I0+0+0+0], v[vgprValuA_X2_I0+4+0+0], v[4:7]
 // Cr += Ar*Br
/*  mfmaIndex:41  */
_buffer_load_b128 v[vgprG2LB+0:vgprG2LB+0+3], v[vgprGlobalReadOffsetB+0], s[sgprSrdB:sgprSrdB+3], 0, offen offset:0 // G -> Reg 0_0_0_0
v_mfma_f32_16x16x4f32 v[20+0:23+0], v[vgprValuB_X2_I0+0+0+0], v[vgprValuA_X2_I0+4+0+0+1], v[20:23]
 // Ci += Ai*Br
/*  mfmaIndex:42  */
v_mfma_f32_16x16x4f32 v[4+0:7+0], v[vgprValuB_X2_I0+0+0+0+1], v[vgprValuA_X2_I0+4+0+0+1], v[4:7]
 // Cr += Ai*Bi
/*  mfmaIndex:43  */
v_mfma_f32_16x16x4f32 v[20+0:23+0], v[vgprValuB_X2_I0+0+0+0+1], v89, v[20:23]
 // Ci += -Ar*Bi
/*  mfmaIndex:44  */
v_mfma_f32_16x16x4f32 v[12+0:15+0], v[vgprValuB_X2_I0+2+0+0], v[vgprValuA_X2_I0+4+0+0], v[12:15]
 // Cr += Ar*Br
/*  mfmaIndex:45  */
v_mfma_f32_16x16x4f32 v[28+0:31+0], v[vgprValuB_X2_I0+2+0+0], v[vgprValuA_X2_I0+4+0+0+1], v[28:31]
 // Ci += Ai*Br
/*  mfmaIndex:46  */
v_mfma_f32_16x16x4f32 v[12+0:15+0], v[vgprValuB_X2_I0+2+0+0+1], v[vgprValuA_X2_I0+4+0+0+1], v[12:15]
 // Cr += Ai*Bi
/*  mfmaIndex:47  */

/* local read swap offsets a */

/* local read swap offsets b */

/* local read init pointers a */

/* localReadInitPointers */

/* local read init pointers b */

/* localReadInitPointers */
v_mfma_f32_16x16x4f32 v[28+0:31+0], v[vgprValuB_X2_I0+2+0+0+1], v89, v[28:31]
 // Ci += -Ar*Bi


/* iter 3 (swap and reset local write pointers iteration)  */

/*  grEndMfmaIndex:4, lwStartMfmaIndex:12, lwEndMfmaIndex:55  */
/*  numMfmaForLR:6, barrierMfmaIndex:57, LocalWritePerMfma:0.070 */
/*  mfmaIndex:48  */
v_add_f32 v89, -v[vgprValuA_X2_I0+0+2+0], 0        // Ar=-Ar
v_mfma_f32_16x16x4f32 v[0+0:3+0], v[vgprValuB_X3_I0+0+0+0], v[vgprValuA_X2_I0+0+2+0], v[0:3]
 // Cr += Ar*Br
/*  mfmaIndex:49  */
v_mfma_f32_16x16x4f32 v[16+0:19+0], v[vgprValuB_X3_I0+0+0+0], v[vgprValuA_X2_I0+0+2+0+1], v[16:19]
 // Ci += Ai*Br
/*  mfmaIndex:50  */
v_mfma_f32_16x16x4f32 v[0+0:3+0], v[vgprValuB_X3_I0+0+0+0+1], v[vgprValuA_X2_I0+0+2+0+1], v[0:3]
 // Cr += Ai*Bi
/*  mfmaIndex:51  */
v_mfma_f32_16x16x4f32 v[16+0:19+0], v[vgprValuB_X3_I0+0+0+0+1], v89, v[16:19]
 // Ci += -Ar*Bi
/*  mfmaIndex:52  */
v_mfma_f32_16x16x4f32 v[8+0:11+0], v[vgprValuB_X3_I0+2+0+0], v[vgprValuA_X2_I0+0+2+0], v[8:11]
 // Cr += Ar*Br
/*  mfmaIndex:53  */
v_mfma_f32_16x16x4f32 v[24+0:27+0], v[vgprValuB_X3_I0+2+0+0], v[vgprValuA_X2_I0+0+2+0+1], v[24:27]
 // Ci += Ai*Br
/*  mfmaIndex:54  */
/* sched write - iter 3 writesPerItem=1 */
s_waitcnt vmcnt(0)                                 // lgkmcnt=-1 vmcnt=0wait for global read before writing to local
_ds_store_b128 v[vgprLocalWriteAddrB], v[vgprG2LB+4:vgprG2LB+4+3] offset:4096 // lwoB_0_0_1_0 = (0*LSCB) + (1*LSPB)(*MT1J+PAD) = 4096
v_mfma_f32_16x16x4f32 v[8+0:11+0], v[vgprValuB_X3_I0+2+0+0+1], v[vgprValuA_X2_I0+0+2+0+1], v[8:11]
 // Cr += Ai*Bi
/*  mfmaIndex:55  */
_buffer_load_b128 v[vgprG2LB+4:vgprG2LB+4+3], v[vgprGlobalReadOffsetB+1], s[sgprSrdB:sgprSrdB+3], 0, offen offset:0 // G -> Reg 0_0_1_0

/* local write swap offsets a */

/* local write swap offsets b */
v_mfma_f32_16x16x4f32 v[24+0:27+0], v[vgprValuB_X3_I0+2+0+0+1], v89, v[24:27]
 // Ci += -Ar*Bi
/*  mfmaIndex:56  */
v_add_f32 v89, -v[vgprValuA_X2_I0+4+2+0], 0        // Ar=-Ar
v_mfma_f32_16x16x4f32 v[4+0:7+0], v[vgprValuB_X3_I0+0+0+0], v[vgprValuA_X2_I0+4+2+0], v[4:7]
 // Cr += Ar*Br
s_setprio 0                                        // store optimization
/*  mfmaIndex:57  */
s_waitcnt lgkmcnt(0)                               // lgkmcnt=0 vmcnt=-13wait for local write
// Skip force waitcnt0
s_barrier //
v_mfma_f32_16x16x4f32 v[20+0:23+0], v[vgprValuB_X3_I0+0+0+0], v[vgprValuA_X2_I0+4+2+0+1], v[20:23]
 // Ci += Ai*Br
/*  mfmaIndex:58  */
s_setprio 3                                        // store optimization
_ds_load_b128 v[vgprValuA_X0_I0+0:vgprValuA_X0_I0+0+3], v[vgprLocalReadAddrA] offset:0 // L -> Reg lro=0 swapByteOffset=0 ti=64 vIdx=0 rIdx=0 oIdx=0 buffer=0 iui=0
v_mfma_f32_16x16x4f32 v[4+0:7+0], v[vgprValuB_X3_I0+0+0+0+1], v[vgprValuA_X2_I0+4+2+0+1], v[4:7]
 // Cr += Ai*Bi
/*  mfmaIndex:59  */
_ds_load_b64 v[vgprValuB_X0_I0+0:vgprValuB_X0_I0+0+1], v[vgprLocalReadAddrB] offset:0 // L -> Reg lro=0 swapByteOffset=0 ti=32 vIdx=0 rIdx=0 oIdx=0 buffer=0 iui=0
v_mfma_f32_16x16x4f32 v[20+0:23+0], v[vgprValuB_X3_I0+0+0+0+1], v89, v[20:23]
 // Ci += -Ar*Bi
/*  mfmaIndex:60  */
_ds_load_b128 v[vgprValuA_X0_I0+4:vgprValuA_X0_I0+4+3], v[vgprLocalReadAddrA] offset:144 // L -> Reg lro=0 swapByteOffset=0 ti=64 vIdx=0 rIdx=0 oIdx=0 buffer=0 iui=0
v_mfma_f32_16x16x4f32 v[12+0:15+0], v[vgprValuB_X3_I0+2+0+0], v[vgprValuA_X2_I0+4+2+0], v[12:15]
 // Cr += Ar*Br
/*  mfmaIndex:61  */
_ds_load_b64 v[vgprValuB_X0_I0+2:vgprValuB_X0_I0+2+1], v[vgprLocalReadAddrB] offset:256 // L -> Reg lro=0 swapByteOffset=0 ti=32 vIdx=1 rIdx=0 oIdx=0 buffer=0 iui=0
v_mfma_f32_16x16x4f32 v[28+0:31+0], v[vgprValuB_X3_I0+2+0+0], v[vgprValuA_X2_I0+4+2+0+1], v[28:31]
 // Ci += Ai*Br
/*  mfmaIndex:62  */
v_mfma_f32_16x16x4f32 v[12+0:15+0], v[vgprValuB_X3_I0+2+0+0+1], v[vgprValuA_X2_I0+4+2+0+1], v[12:15]
 // Cr += Ai*Bi
/*  mfmaIndex:63  */
v_mfma_f32_16x16x4f32 v[28+0:31+0], v[vgprValuB_X3_I0+2+0+0+1], v89, v[28:31]
 // Ci += -Ar*Bi
s_setprio 0                                        // store optimization


/******************************************/
/* Unrolled Loop - End 1/2                */
/******************************************/


/* closeLoop loopL finalLoop=0 tailLoop=0 */
s_sub_u32 s[sgprLoopCounterL], s[sgprLoopCounterL], 1 // dec counterL
s_cmp_eq_i32 s[sgprLoopCounterL], 0x2              // counterL==2
s_cbranch_scc1 LoopEndL_oddexit_3                  // exit LoopL


/******************************************/
/* Unrolled Loop 2/2 - Begin              */
/******************************************/

label_0016: // LoopCopy2 


/* Begin Each Unroll: Check VGPR.checkin for INT8 LW */


	;; [unrolled: 1-line block ×3, first 2 shown]
/* iter 0 */

/*  grEndMfmaIndex:4, lwStartMfmaIndex:12, lwEndMfmaIndex:55  */
/*  numMfmaForLR:6, barrierMfmaIndex:57, LocalWritePerMfma:0.070 */
/*  mfmaIndex:0  */
s_waitcnt lgkmcnt(0)                               // lgkmcnt=0 vmcnt=-1wait for prior local read local write old=0, new=0 newLW=0 newLR=0
v_add_f32 v89, -v[vgprValuA_X0_I0+0+0+0], 0        // Ar=-Ar
v_mfma_f32_16x16x4f32 v[0+0:3+0], v[vgprValuB_X0_I0+0+0+0], v[vgprValuA_X0_I0+0+0+0], v[0:3]
 // Cr += Ar*Br
/*  mfmaIndex:1  */
_ds_load_b128 v[vgprValuA_X2_I0+0:vgprValuA_X2_I0+0+3], v[vgprLocalReadAddrA] offset:64 // L -> Reg lro=8 swapByteOffset=0 ti=64 vIdx=0 rIdx=0 oIdx=0 buffer=2 iui=0

/* global read inc A loopL */
s_add_u32 s[sgprSrdA+0], s[sgprSrdA+0], s[sgprGlobalReadIncsA+0] // gra SRD += inc(lower)
s_addc_u32  s[sgprSrdA+1], s[sgprSrdA+1], 0        // gra SRD += inc(upper)
s_sub_u32 s[sgprShadowLimitA+0], s[sgprShadowLimitA+0], s[sgprGlobalReadIncsA+0] // limit -= inc)
v_mfma_f32_16x16x4f32 v[16+0:19+0], v[vgprValuB_X0_I0+0+0+0], v[vgprValuA_X0_I0+0+0+0+1], v[16:19]
 // Ci += Ai*Br
/*  mfmaIndex:2  */
_ds_load_b64 v[vgprValuB_X1_I0+0:vgprValuB_X1_I0+0+1], v[vgprLocalReadAddrB] offset:512 // L -> Reg lro=64 swapByteOffset=0 ti=32 vIdx=0 rIdx=0 oIdx=0 buffer=1 iui=0
s_subb_u32 s[sgprShadowLimitA+1], s[sgprShadowLimitA+1], 0 // limit -= inc)
s_cmp_eq_u32 s[sgprShadowLimitA+1], 0              // are we within 2^32?
s_cmov_b32 s[sgprSrdA+2], s[sgprShadowLimitA+0]    // Move shadow to real if we are within 2^32
v_mfma_f32_16x16x4f32 v[0+0:3+0], v[vgprValuB_X0_I0+0+0+0+1], v[vgprValuA_X0_I0+0+0+0+1], v[0:3]
 // Cr += Ai*Bi
/*  mfmaIndex:3  */
_ds_load_b128 v[vgprValuA_X2_I0+4:vgprValuA_X2_I0+4+3], v[vgprLocalReadAddrA] offset:208 // L -> Reg lro=8 swapByteOffset=0 ti=64 vIdx=0 rIdx=0 oIdx=0 buffer=2 iui=0

/* global read inc B loopL */
s_add_u32 s[sgprSrdB+0], s[sgprSrdB+0], s[sgprGlobalReadIncsB+0] // gra SRD += inc(lower)
s_addc_u32  s[sgprSrdB+1], s[sgprSrdB+1], 0        // gra SRD += inc(upper)
s_sub_u32 s[sgprShadowLimitB+0], s[sgprShadowLimitB+0], s[sgprGlobalReadIncsB+0] // limit -= inc)
v_mfma_f32_16x16x4f32 v[16+0:19+0], v[vgprValuB_X0_I0+0+0+0+1], v89, v[16:19]
 // Ci += -Ar*Bi
/*  mfmaIndex:4  */
_ds_load_b64 v[vgprValuB_X1_I0+2:vgprValuB_X1_I0+2+1], v[vgprLocalReadAddrB] offset:768 // L -> Reg lro=64 swapByteOffset=0 ti=32 vIdx=1 rIdx=0 oIdx=0 buffer=1 iui=0
/* localReadsVacancy: latencyLeft 3 */
_ds_load_b64 v[vgprValuB_X2_I0+0:vgprValuB_X2_I0+0+1], v[vgprLocalReadAddrB] offset:4096 // L -> Reg lro=512 swapByteOffset=0 ti=32 vIdx=0 rIdx=0 oIdx=0 buffer=2 iui=0
s_subb_u32 s[sgprShadowLimitB+1], s[sgprShadowLimitB+1], 0 // limit -= inc)
s_cmp_eq_u32 s[sgprShadowLimitB+1], 0              // are we within 2^32?
s_cmov_b32 s[sgprSrdB+2], s[sgprShadowLimitB+0]    // Move shadow to real if we are within 2^32
v_mfma_f32_16x16x4f32 v[8+0:11+0], v[vgprValuB_X0_I0+2+0+0], v[vgprValuA_X0_I0+0+0+0], v[8:11]
 // Cr += Ar*Br
/*  mfmaIndex:5  */
/* localReadsVacancy: latencyLeft 5 */
_ds_load_b64 v[vgprValuB_X2_I0+2:vgprValuB_X2_I0+2+1], v[vgprLocalReadAddrB] offset:4352 // L -> Reg lro=512 swapByteOffset=0 ti=32 vIdx=1 rIdx=0 oIdx=0 buffer=2 iui=0
_ds_load_b64 v[vgprValuB_X3_I0+0:vgprValuB_X3_I0+0+1], v[vgprLocalReadAddrB] offset:4608 // L -> Reg lro=576 swapByteOffset=0 ti=32 vIdx=0 rIdx=0 oIdx=0 buffer=3 iui=0
v_mfma_f32_16x16x4f32 v[24+0:27+0], v[vgprValuB_X0_I0+2+0+0], v[vgprValuA_X0_I0+0+0+0+1], v[24:27]
 // Ci += Ai*Br
/*  mfmaIndex:6  */
/* localReadsVacancy: latencyLeft 5 */
_ds_load_b64 v[vgprValuB_X3_I0+2:vgprValuB_X3_I0+2+1], v[vgprLocalReadAddrB] offset:4864 // L -> Reg lro=576 swapByteOffset=0 ti=32 vIdx=1 rIdx=0 oIdx=0 buffer=3 iui=0
v_mfma_f32_16x16x4f32 v[8+0:11+0], v[vgprValuB_X0_I0+2+0+0+1], v[vgprValuA_X0_I0+0+0+0+1], v[8:11]
 // Cr += Ai*Bi
/*  mfmaIndex:7  */
/* localReadsVacancy: latencyLeft 5 */
v_mfma_f32_16x16x4f32 v[24+0:27+0], v[vgprValuB_X0_I0+2+0+0+1], v89, v[24:27]
 // Ci += -Ar*Bi
/*  mfmaIndex:8  */
/* localReadsVacancy: latencyLeft 5 */
v_add_f32 v89, -v[vgprValuA_X0_I0+4+0+0], 0        // Ar=-Ar
v_mfma_f32_16x16x4f32 v[4+0:7+0], v[vgprValuB_X0_I0+0+0+0], v[vgprValuA_X0_I0+4+0+0], v[4:7]
 // Cr += Ar*Br
/*  mfmaIndex:9  */
/* localReadsVacancy: latencyLeft 5 */
v_mfma_f32_16x16x4f32 v[20+0:23+0], v[vgprValuB_X0_I0+0+0+0], v[vgprValuA_X0_I0+4+0+0+1], v[20:23]
 // Ci += Ai*Br
/*  mfmaIndex:10  */
/* localReadsVacancy: latencyLeft 5 */
v_mfma_f32_16x16x4f32 v[4+0:7+0], v[vgprValuB_X0_I0+0+0+0+1], v[vgprValuA_X0_I0+4+0+0+1], v[4:7]
 // Cr += Ai*Bi
/*  mfmaIndex:11  */
/* localReadsVacancy: latencyLeft 5 */
/* 1 LDS buffer: read-sync-write */
s_waitcnt lgkmcnt(0)                               // 
s_barrier                                          // 
v_mfma_f32_16x16x4f32 v[20+0:23+0], v[vgprValuB_X0_I0+0+0+0+1], v89, v[20:23]
 // Ci += -Ar*Bi
/*  mfmaIndex:12  */
s_setprio 3                                        // store optimization
/* sched write - iter 0 writesPerItem=1 */
s_waitcnt vmcnt(0)                                 // lgkmcnt=-1 vmcnt=0wait for global read before writing to local
_ds_store_b128 v[vgprLocalWriteAddrA], v[vgprG2LA+0:vgprG2LA+0+3] offset:0 // lwoA_0_0_0_0 = (0*LSCA)*(MT0I+PAD) + (0*LSPA) = 0
v_mfma_f32_16x16x4f32 v[12+0:15+0], v[vgprValuB_X0_I0+2+0+0], v[vgprValuA_X0_I0+4+0+0], v[12:15]
 // Cr += Ar*Br
/*  mfmaIndex:13  */
_buffer_load_b128 v[vgprG2LA+0:vgprG2LA+0+3], v[vgprGlobalReadOffsetA+0], s[sgprSrdA:sgprSrdA+3], 0, offen offset:0 // G -> Reg 0_0_0_0
v_mfma_f32_16x16x4f32 v[28+0:31+0], v[vgprValuB_X0_I0+2+0+0], v[vgprValuA_X0_I0+4+0+0+1], v[28:31]
 // Ci += Ai*Br
/*  mfmaIndex:14  */
v_mfma_f32_16x16x4f32 v[12+0:15+0], v[vgprValuB_X0_I0+2+0+0+1], v[vgprValuA_X0_I0+4+0+0+1], v[12:15]
 // Cr += Ai*Bi
/*  mfmaIndex:15  */
v_mfma_f32_16x16x4f32 v[28+0:31+0], v[vgprValuB_X0_I0+2+0+0+1], v89, v[28:31]
 // Ci += -Ar*Bi
/* numPrefetchIter=0 */
/* dataAtIterA=-1 numReadsIterA=1 skipReadsIterA=1 readsPerIterA=2 */
/* dataAtIterB=-1 numReadsIterB=1 skipReadsIterB=1 readsPerIterB=2 */


/* iter 1 */

/*  grEndMfmaIndex:4, lwStartMfmaIndex:12, lwEndMfmaIndex:55  */
/*  numMfmaForLR:6, barrierMfmaIndex:57, LocalWritePerMfma:0.070 */
/*  mfmaIndex:16  */
v_add_f32 v89, -v[vgprValuA_X0_I0+0+2+0], 0        // Ar=-Ar
v_mfma_f32_16x16x4f32 v[0+0:3+0], v[vgprValuB_X1_I0+0+0+0], v[vgprValuA_X0_I0+0+2+0], v[0:3]
 // Cr += Ar*Br
/*  mfmaIndex:17  */
v_mfma_f32_16x16x4f32 v[16+0:19+0], v[vgprValuB_X1_I0+0+0+0], v[vgprValuA_X0_I0+0+2+0+1], v[16:19]
 // Ci += Ai*Br
/*  mfmaIndex:18  */
v_mfma_f32_16x16x4f32 v[0+0:3+0], v[vgprValuB_X1_I0+0+0+0+1], v[vgprValuA_X0_I0+0+2+0+1], v[0:3]
 // Cr += Ai*Bi
/*  mfmaIndex:19  */
v_mfma_f32_16x16x4f32 v[16+0:19+0], v[vgprValuB_X1_I0+0+0+0+1], v89, v[16:19]
 // Ci += -Ar*Bi
/*  mfmaIndex:20  */
v_mfma_f32_16x16x4f32 v[8+0:11+0], v[vgprValuB_X1_I0+2+0+0], v[vgprValuA_X0_I0+0+2+0], v[8:11]
 // Cr += Ar*Br
/*  mfmaIndex:21  */
v_mfma_f32_16x16x4f32 v[24+0:27+0], v[vgprValuB_X1_I0+2+0+0], v[vgprValuA_X0_I0+0+2+0+1], v[24:27]
 // Ci += Ai*Br
/*  mfmaIndex:22  */
v_mfma_f32_16x16x4f32 v[8+0:11+0], v[vgprValuB_X1_I0+2+0+0+1], v[vgprValuA_X0_I0+0+2+0+1], v[8:11]
 // Cr += Ai*Bi
/*  mfmaIndex:23  */
v_mfma_f32_16x16x4f32 v[24+0:27+0], v[vgprValuB_X1_I0+2+0+0+1], v89, v[24:27]
 // Ci += -Ar*Bi
/*  mfmaIndex:24  */
v_add_f32 v89, -v[vgprValuA_X0_I0+4+2+0], 0        // Ar=-Ar
v_mfma_f32_16x16x4f32 v[4+0:7+0], v[vgprValuB_X1_I0+0+0+0], v[vgprValuA_X0_I0+4+2+0], v[4:7]
 // Cr += Ar*Br
/*  mfmaIndex:25  */
v_mfma_f32_16x16x4f32 v[20+0:23+0], v[vgprValuB_X1_I0+0+0+0], v[vgprValuA_X0_I0+4+2+0+1], v[20:23]
 // Ci += Ai*Br
/*  mfmaIndex:26  */
/* sched write - iter 1 writesPerItem=1 */
s_waitcnt vmcnt(0)                                 // lgkmcnt=-1 vmcnt=0wait for global read before writing to local
_ds_store_b128 v[vgprLocalWriteAddrA], v[vgprG2LA+4:vgprG2LA+4+3] offset:4608 // lwoA_0_0_1_0 = (0*LSCA)*(MT0I+PAD) + (1*LSPA) = 4608
v_mfma_f32_16x16x4f32 v[4+0:7+0], v[vgprValuB_X1_I0+0+0+0+1], v[vgprValuA_X0_I0+4+2+0+1], v[4:7]
 // Cr += Ai*Bi
/*  mfmaIndex:27  */
_buffer_load_b128 v[vgprG2LA+4:vgprG2LA+4+3], v[vgprGlobalReadOffsetA+1], s[sgprSrdA:sgprSrdA+3], 0, offen offset:0 // G -> Reg 0_0_1_0
v_mfma_f32_16x16x4f32 v[20+0:23+0], v[vgprValuB_X1_I0+0+0+0+1], v89, v[20:23]
 // Ci += -Ar*Bi
/*  mfmaIndex:28  */
v_mfma_f32_16x16x4f32 v[12+0:15+0], v[vgprValuB_X1_I0+2+0+0], v[vgprValuA_X0_I0+4+2+0], v[12:15]
 // Cr += Ar*Br
/*  mfmaIndex:29  */
v_mfma_f32_16x16x4f32 v[28+0:31+0], v[vgprValuB_X1_I0+2+0+0], v[vgprValuA_X0_I0+4+2+0+1], v[28:31]
 // Ci += Ai*Br
/*  mfmaIndex:30  */
v_mfma_f32_16x16x4f32 v[12+0:15+0], v[vgprValuB_X1_I0+2+0+0+1], v[vgprValuA_X0_I0+4+2+0+1], v[12:15]
 // Cr += Ai*Bi
/*  mfmaIndex:31  */
v_mfma_f32_16x16x4f32 v[28+0:31+0], v[vgprValuB_X1_I0+2+0+0+1], v89, v[28:31]
 // Ci += -Ar*Bi


/* iter 2 (reset local read pointers iteration)  (swap local read pointers iteration)  */

/*  grEndMfmaIndex:4, lwStartMfmaIndex:12, lwEndMfmaIndex:55  */
/*  numMfmaForLR:6, barrierMfmaIndex:57, LocalWritePerMfma:0.070 */
/*  mfmaIndex:32  */
v_add_f32 v89, -v[vgprValuA_X2_I0+0+0+0], 0        // Ar=-Ar
v_mfma_f32_16x16x4f32 v[0+0:3+0], v[vgprValuB_X2_I0+0+0+0], v[vgprValuA_X2_I0+0+0+0], v[0:3]
 // Cr += Ar*Br
/*  mfmaIndex:33  */
v_mfma_f32_16x16x4f32 v[16+0:19+0], v[vgprValuB_X2_I0+0+0+0], v[vgprValuA_X2_I0+0+0+0+1], v[16:19]
 // Ci += Ai*Br
/*  mfmaIndex:34  */
v_mfma_f32_16x16x4f32 v[0+0:3+0], v[vgprValuB_X2_I0+0+0+0+1], v[vgprValuA_X2_I0+0+0+0+1], v[0:3]
 // Cr += Ai*Bi
/*  mfmaIndex:35  */
v_mfma_f32_16x16x4f32 v[16+0:19+0], v[vgprValuB_X2_I0+0+0+0+1], v89, v[16:19]
 // Ci += -Ar*Bi
/*  mfmaIndex:36  */
v_mfma_f32_16x16x4f32 v[8+0:11+0], v[vgprValuB_X2_I0+2+0+0], v[vgprValuA_X2_I0+0+0+0], v[8:11]
 // Cr += Ar*Br
/*  mfmaIndex:37  */
v_mfma_f32_16x16x4f32 v[24+0:27+0], v[vgprValuB_X2_I0+2+0+0], v[vgprValuA_X2_I0+0+0+0+1], v[24:27]
 // Ci += Ai*Br
/*  mfmaIndex:38  */
v_mfma_f32_16x16x4f32 v[8+0:11+0], v[vgprValuB_X2_I0+2+0+0+1], v[vgprValuA_X2_I0+0+0+0+1], v[8:11]
 // Cr += Ai*Bi
/*  mfmaIndex:39  */
v_mfma_f32_16x16x4f32 v[24+0:27+0], v[vgprValuB_X2_I0+2+0+0+1], v89, v[24:27]
 // Ci += -Ar*Bi
/*  mfmaIndex:40  */
/* sched write - iter 2 writesPerItem=1 */
s_waitcnt vmcnt(0)                                 // lgkmcnt=-1 vmcnt=0wait for global read before writing to local
_ds_store_b128 v[vgprLocalWriteAddrB], v[vgprG2LB+0:vgprG2LB+0+3] offset:0 // lwoB_0_0_0_0 = (0*LSCB) + (0*LSPB)(*MT1J+PAD) = 0
v_add_f32 v89, -v[vgprValuA_X2_I0+4+0+0], 0        // Ar=-Ar
v_mfma_f32_16x16x4f32 v[4+0:7+0], v[vgprValuB_X2_I0+0+0+0], v[vgprValuA_X2_I0+4+0+0], v[4:7]
 // Cr += Ar*Br
/*  mfmaIndex:41  */
_buffer_load_b128 v[vgprG2LB+0:vgprG2LB+0+3], v[vgprGlobalReadOffsetB+0], s[sgprSrdB:sgprSrdB+3], 0, offen offset:0 // G -> Reg 0_0_0_0
v_mfma_f32_16x16x4f32 v[20+0:23+0], v[vgprValuB_X2_I0+0+0+0], v[vgprValuA_X2_I0+4+0+0+1], v[20:23]
 // Ci += Ai*Br
/*  mfmaIndex:42  */
v_mfma_f32_16x16x4f32 v[4+0:7+0], v[vgprValuB_X2_I0+0+0+0+1], v[vgprValuA_X2_I0+4+0+0+1], v[4:7]
 // Cr += Ai*Bi
/*  mfmaIndex:43  */
v_mfma_f32_16x16x4f32 v[20+0:23+0], v[vgprValuB_X2_I0+0+0+0+1], v89, v[20:23]
 // Ci += -Ar*Bi
/*  mfmaIndex:44  */
v_mfma_f32_16x16x4f32 v[12+0:15+0], v[vgprValuB_X2_I0+2+0+0], v[vgprValuA_X2_I0+4+0+0], v[12:15]
 // Cr += Ar*Br
/*  mfmaIndex:45  */
v_mfma_f32_16x16x4f32 v[28+0:31+0], v[vgprValuB_X2_I0+2+0+0], v[vgprValuA_X2_I0+4+0+0+1], v[28:31]
 // Ci += Ai*Br
/*  mfmaIndex:46  */
v_mfma_f32_16x16x4f32 v[12+0:15+0], v[vgprValuB_X2_I0+2+0+0+1], v[vgprValuA_X2_I0+4+0+0+1], v[12:15]
 // Cr += Ai*Bi
/*  mfmaIndex:47  */

/* local read swap offsets a */

/* local read swap offsets b */

/* local read init pointers a */

/* localReadInitPointers */

/* local read init pointers b */

/* localReadInitPointers */
v_mfma_f32_16x16x4f32 v[28+0:31+0], v[vgprValuB_X2_I0+2+0+0+1], v89, v[28:31]
 // Ci += -Ar*Bi


/* iter 3 (swap and reset local write pointers iteration)  */

/*  grEndMfmaIndex:4, lwStartMfmaIndex:12, lwEndMfmaIndex:55  */
/*  numMfmaForLR:6, barrierMfmaIndex:57, LocalWritePerMfma:0.070 */
/*  mfmaIndex:48  */
v_add_f32 v89, -v[vgprValuA_X2_I0+0+2+0], 0        // Ar=-Ar
v_mfma_f32_16x16x4f32 v[0+0:3+0], v[vgprValuB_X3_I0+0+0+0], v[vgprValuA_X2_I0+0+2+0], v[0:3]
 // Cr += Ar*Br
/*  mfmaIndex:49  */
v_mfma_f32_16x16x4f32 v[16+0:19+0], v[vgprValuB_X3_I0+0+0+0], v[vgprValuA_X2_I0+0+2+0+1], v[16:19]
 // Ci += Ai*Br
/*  mfmaIndex:50  */
v_mfma_f32_16x16x4f32 v[0+0:3+0], v[vgprValuB_X3_I0+0+0+0+1], v[vgprValuA_X2_I0+0+2+0+1], v[0:3]
 // Cr += Ai*Bi
/*  mfmaIndex:51  */
v_mfma_f32_16x16x4f32 v[16+0:19+0], v[vgprValuB_X3_I0+0+0+0+1], v89, v[16:19]
 // Ci += -Ar*Bi
/*  mfmaIndex:52  */
v_mfma_f32_16x16x4f32 v[8+0:11+0], v[vgprValuB_X3_I0+2+0+0], v[vgprValuA_X2_I0+0+2+0], v[8:11]
 // Cr += Ar*Br
/*  mfmaIndex:53  */
v_mfma_f32_16x16x4f32 v[24+0:27+0], v[vgprValuB_X3_I0+2+0+0], v[vgprValuA_X2_I0+0+2+0+1], v[24:27]
 // Ci += Ai*Br
/*  mfmaIndex:54  */
/* sched write - iter 3 writesPerItem=1 */
s_waitcnt vmcnt(0)                                 // lgkmcnt=-1 vmcnt=0wait for global read before writing to local
_ds_store_b128 v[vgprLocalWriteAddrB], v[vgprG2LB+4:vgprG2LB+4+3] offset:4096 // lwoB_0_0_1_0 = (0*LSCB) + (1*LSPB)(*MT1J+PAD) = 4096
v_mfma_f32_16x16x4f32 v[8+0:11+0], v[vgprValuB_X3_I0+2+0+0+1], v[vgprValuA_X2_I0+0+2+0+1], v[8:11]
 // Cr += Ai*Bi
/*  mfmaIndex:55  */
_buffer_load_b128 v[vgprG2LB+4:vgprG2LB+4+3], v[vgprGlobalReadOffsetB+1], s[sgprSrdB:sgprSrdB+3], 0, offen offset:0 // G -> Reg 0_0_1_0

/* local write swap offsets a */

/* local write swap offsets b */
v_mfma_f32_16x16x4f32 v[24+0:27+0], v[vgprValuB_X3_I0+2+0+0+1], v89, v[24:27]
 // Ci += -Ar*Bi
/*  mfmaIndex:56  */
v_add_f32 v89, -v[vgprValuA_X2_I0+4+2+0], 0        // Ar=-Ar
v_mfma_f32_16x16x4f32 v[4+0:7+0], v[vgprValuB_X3_I0+0+0+0], v[vgprValuA_X2_I0+4+2+0], v[4:7]
 // Cr += Ar*Br
s_setprio 0                                        // store optimization
/*  mfmaIndex:57  */
s_waitcnt lgkmcnt(0)                               // lgkmcnt=0 vmcnt=-13wait for local write
// Skip force waitcnt0
s_barrier //
v_mfma_f32_16x16x4f32 v[20+0:23+0], v[vgprValuB_X3_I0+0+0+0], v[vgprValuA_X2_I0+4+2+0+1], v[20:23]
 // Ci += Ai*Br
/*  mfmaIndex:58  */
s_setprio 3                                        // store optimization
_ds_load_b128 v[vgprValuA_X0_I0+0:vgprValuA_X0_I0+0+3], v[vgprLocalReadAddrA] offset:0 // L -> Reg lro=0 swapByteOffset=0 ti=64 vIdx=0 rIdx=0 oIdx=0 buffer=0 iui=0
v_mfma_f32_16x16x4f32 v[4+0:7+0], v[vgprValuB_X3_I0+0+0+0+1], v[vgprValuA_X2_I0+4+2+0+1], v[4:7]
 // Cr += Ai*Bi
/*  mfmaIndex:59  */
_ds_load_b64 v[vgprValuB_X0_I0+0:vgprValuB_X0_I0+0+1], v[vgprLocalReadAddrB] offset:0 // L -> Reg lro=0 swapByteOffset=0 ti=32 vIdx=0 rIdx=0 oIdx=0 buffer=0 iui=0
v_mfma_f32_16x16x4f32 v[20+0:23+0], v[vgprValuB_X3_I0+0+0+0+1], v89, v[20:23]
 // Ci += -Ar*Bi
/*  mfmaIndex:60  */
_ds_load_b128 v[vgprValuA_X0_I0+4:vgprValuA_X0_I0+4+3], v[vgprLocalReadAddrA] offset:144 // L -> Reg lro=0 swapByteOffset=0 ti=64 vIdx=0 rIdx=0 oIdx=0 buffer=0 iui=0
v_mfma_f32_16x16x4f32 v[12+0:15+0], v[vgprValuB_X3_I0+2+0+0], v[vgprValuA_X2_I0+4+2+0], v[12:15]
 // Cr += Ar*Br
/*  mfmaIndex:61  */
_ds_load_b64 v[vgprValuB_X0_I0+2:vgprValuB_X0_I0+2+1], v[vgprLocalReadAddrB] offset:256 // L -> Reg lro=0 swapByteOffset=0 ti=32 vIdx=1 rIdx=0 oIdx=0 buffer=0 iui=0
v_mfma_f32_16x16x4f32 v[28+0:31+0], v[vgprValuB_X3_I0+2+0+0], v[vgprValuA_X2_I0+4+2+0+1], v[28:31]
 // Ci += Ai*Br
/*  mfmaIndex:62  */
v_mfma_f32_16x16x4f32 v[12+0:15+0], v[vgprValuB_X3_I0+2+0+0+1], v[vgprValuA_X2_I0+4+2+0+1], v[12:15]
 // Cr += Ai*Bi
/*  mfmaIndex:63  */
v_mfma_f32_16x16x4f32 v[28+0:31+0], v[vgprValuB_X3_I0+2+0+0+1], v89, v[28:31]
 // Ci += -Ar*Bi
s_setprio 0                                        // store optimization


/******************************************/
/* Unrolled Loop - End 2/2 (final)        */
/******************************************/


/* closeLoop loopL finalLoop=1 tailLoop=0 */
s_sub_u32 s[sgprLoopCounterL], s[sgprLoopCounterL], 1 // dec counterL
s_cmp_eq_i32 s[sgprLoopCounterL], 0x2              // counterL==2
s_cbranch_scc0 LoopBeginL_1                        // restart LoopL
LoopEndL_evenexit_4: // unroll loop eveniter exit
s_branch LoopEndL_2                                // exit unroll loopL (and skip second exit code)
LoopEndL_oddexit_3: // unroll loop odditer exit

/* Select high bank of LDS */
LoopEndL_2:


/* Before NLL: Check VGPR.checkin for INT8 LW */


/******************************************/
/* Ord. NoGlobalLoadLoop - Begin                                      */
/******************************************/


	;; [unrolled: 1-line block ×3, first 2 shown]
/* iter 0 */

/*  grEndMfmaIndex:4, lwStartMfmaIndex:12, lwEndMfmaIndex:55  */
/*  numMfmaForLR:6, barrierMfmaIndex:57, LocalWritePerMfma:0.070 */
/*  mfmaIndex:0  */
s_waitcnt lgkmcnt(0)                               // lgkmcnt=0 vmcnt=-1wait for prior local read local write old=0, new=0 newLW=0 newLR=0
v_add_f32 v89, -v[vgprValuA_X0_I0+0+0+0], 0        // Ar=-Ar
v_mfma_f32_16x16x4f32 v[0+0:3+0], v[vgprValuB_X0_I0+0+0+0], v[vgprValuA_X0_I0+0+0+0], v[0:3]
 // Cr += Ar*Br
/*  mfmaIndex:1  */
_ds_load_b128 v[vgprValuA_X2_I0+0:vgprValuA_X2_I0+0+3], v[vgprLocalReadAddrA] offset:64 // L -> Reg lro=8 swapByteOffset=0 ti=64 vIdx=0 rIdx=0 oIdx=0 buffer=2 iui=0

/* global read inc A loopL */
s_add_u32 s[sgprSrdA+0], s[sgprSrdA+0], s[sgprGlobalReadIncsA+0] // gra SRD += inc(lower)
s_addc_u32  s[sgprSrdA+1], s[sgprSrdA+1], 0        // gra SRD += inc(upper)
s_sub_u32 s[sgprShadowLimitA+0], s[sgprShadowLimitA+0], s[sgprGlobalReadIncsA+0] // limit -= inc)
v_mfma_f32_16x16x4f32 v[16+0:19+0], v[vgprValuB_X0_I0+0+0+0], v[vgprValuA_X0_I0+0+0+0+1], v[16:19]
 // Ci += Ai*Br
/*  mfmaIndex:2  */
_ds_load_b64 v[vgprValuB_X1_I0+0:vgprValuB_X1_I0+0+1], v[vgprLocalReadAddrB] offset:512 // L -> Reg lro=64 swapByteOffset=0 ti=32 vIdx=0 rIdx=0 oIdx=0 buffer=1 iui=0
s_subb_u32 s[sgprShadowLimitA+1], s[sgprShadowLimitA+1], 0 // limit -= inc)
s_cmp_eq_u32 s[sgprShadowLimitA+1], 0              // are we within 2^32?
s_cmov_b32 s[sgprSrdA+2], s[sgprShadowLimitA+0]    // Move shadow to real if we are within 2^32
v_mfma_f32_16x16x4f32 v[0+0:3+0], v[vgprValuB_X0_I0+0+0+0+1], v[vgprValuA_X0_I0+0+0+0+1], v[0:3]
 // Cr += Ai*Bi
/*  mfmaIndex:3  */
_ds_load_b128 v[vgprValuA_X2_I0+4:vgprValuA_X2_I0+4+3], v[vgprLocalReadAddrA] offset:208 // L -> Reg lro=8 swapByteOffset=0 ti=64 vIdx=0 rIdx=0 oIdx=0 buffer=2 iui=0

/* global read inc B loopL */
s_add_u32 s[sgprSrdB+0], s[sgprSrdB+0], s[sgprGlobalReadIncsB+0] // gra SRD += inc(lower)
s_addc_u32  s[sgprSrdB+1], s[sgprSrdB+1], 0        // gra SRD += inc(upper)
s_sub_u32 s[sgprShadowLimitB+0], s[sgprShadowLimitB+0], s[sgprGlobalReadIncsB+0] // limit -= inc)
v_mfma_f32_16x16x4f32 v[16+0:19+0], v[vgprValuB_X0_I0+0+0+0+1], v89, v[16:19]
 // Ci += -Ar*Bi
/*  mfmaIndex:4  */
_ds_load_b64 v[vgprValuB_X1_I0+2:vgprValuB_X1_I0+2+1], v[vgprLocalReadAddrB] offset:768 // L -> Reg lro=64 swapByteOffset=0 ti=32 vIdx=1 rIdx=0 oIdx=0 buffer=1 iui=0
/* localReadsVacancy: latencyLeft 3 */
_ds_load_b64 v[vgprValuB_X2_I0+0:vgprValuB_X2_I0+0+1], v[vgprLocalReadAddrB] offset:4096 // L -> Reg lro=512 swapByteOffset=0 ti=32 vIdx=0 rIdx=0 oIdx=0 buffer=2 iui=0
s_subb_u32 s[sgprShadowLimitB+1], s[sgprShadowLimitB+1], 0 // limit -= inc)
s_cmp_eq_u32 s[sgprShadowLimitB+1], 0              // are we within 2^32?
s_cmov_b32 s[sgprSrdB+2], s[sgprShadowLimitB+0]    // Move shadow to real if we are within 2^32
v_mfma_f32_16x16x4f32 v[8+0:11+0], v[vgprValuB_X0_I0+2+0+0], v[vgprValuA_X0_I0+0+0+0], v[8:11]
 // Cr += Ar*Br
/*  mfmaIndex:5  */
/* localReadsVacancy: latencyLeft 5 */
_ds_load_b64 v[vgprValuB_X2_I0+2:vgprValuB_X2_I0+2+1], v[vgprLocalReadAddrB] offset:4352 // L -> Reg lro=512 swapByteOffset=0 ti=32 vIdx=1 rIdx=0 oIdx=0 buffer=2 iui=0
_ds_load_b64 v[vgprValuB_X3_I0+0:vgprValuB_X3_I0+0+1], v[vgprLocalReadAddrB] offset:4608 // L -> Reg lro=576 swapByteOffset=0 ti=32 vIdx=0 rIdx=0 oIdx=0 buffer=3 iui=0
v_mfma_f32_16x16x4f32 v[24+0:27+0], v[vgprValuB_X0_I0+2+0+0], v[vgprValuA_X0_I0+0+0+0+1], v[24:27]
 // Ci += Ai*Br
/*  mfmaIndex:6  */
/* localReadsVacancy: latencyLeft 5 */
_ds_load_b64 v[vgprValuB_X3_I0+2:vgprValuB_X3_I0+2+1], v[vgprLocalReadAddrB] offset:4864 // L -> Reg lro=576 swapByteOffset=0 ti=32 vIdx=1 rIdx=0 oIdx=0 buffer=3 iui=0
v_mfma_f32_16x16x4f32 v[8+0:11+0], v[vgprValuB_X0_I0+2+0+0+1], v[vgprValuA_X0_I0+0+0+0+1], v[8:11]
 // Cr += Ai*Bi
/*  mfmaIndex:7  */
/* localReadsVacancy: latencyLeft 5 */
v_mfma_f32_16x16x4f32 v[24+0:27+0], v[vgprValuB_X0_I0+2+0+0+1], v89, v[24:27]
 // Ci += -Ar*Bi
/*  mfmaIndex:8  */
/* localReadsVacancy: latencyLeft 5 */
v_add_f32 v89, -v[vgprValuA_X0_I0+4+0+0], 0        // Ar=-Ar
v_mfma_f32_16x16x4f32 v[4+0:7+0], v[vgprValuB_X0_I0+0+0+0], v[vgprValuA_X0_I0+4+0+0], v[4:7]
 // Cr += Ar*Br
/*  mfmaIndex:9  */
/* localReadsVacancy: latencyLeft 5 */
v_mfma_f32_16x16x4f32 v[20+0:23+0], v[vgprValuB_X0_I0+0+0+0], v[vgprValuA_X0_I0+4+0+0+1], v[20:23]
 // Ci += Ai*Br
/*  mfmaIndex:10  */
/* localReadsVacancy: latencyLeft 5 */
v_mfma_f32_16x16x4f32 v[4+0:7+0], v[vgprValuB_X0_I0+0+0+0+1], v[vgprValuA_X0_I0+4+0+0+1], v[4:7]
 // Cr += Ai*Bi
/*  mfmaIndex:11  */
/* localReadsVacancy: latencyLeft 5 */
/* 1 LDS buffer: read-sync-write */
s_waitcnt lgkmcnt(0)                               // 
s_barrier                                          // 
v_mfma_f32_16x16x4f32 v[20+0:23+0], v[vgprValuB_X0_I0+0+0+0+1], v89, v[20:23]
 // Ci += -Ar*Bi
/*  mfmaIndex:12  */
s_setprio 3                                        // store optimization
/* sched write - iter 0 writesPerItem=1 */
s_waitcnt vmcnt(0)                                 // lgkmcnt=-1 vmcnt=0wait for global read before writing to local
_ds_store_b128 v[vgprLocalWriteAddrA], v[vgprG2LA+0:vgprG2LA+0+3] offset:0 // lwoA_0_0_0_0 = (0*LSCA)*(MT0I+PAD) + (0*LSPA) = 0
v_mfma_f32_16x16x4f32 v[12+0:15+0], v[vgprValuB_X0_I0+2+0+0], v[vgprValuA_X0_I0+4+0+0], v[12:15]
 // Cr += Ar*Br
/*  mfmaIndex:13  */
v_mfma_f32_16x16x4f32 v[28+0:31+0], v[vgprValuB_X0_I0+2+0+0], v[vgprValuA_X0_I0+4+0+0+1], v[28:31]
 // Ci += Ai*Br
/*  mfmaIndex:14  */
v_mfma_f32_16x16x4f32 v[12+0:15+0], v[vgprValuB_X0_I0+2+0+0+1], v[vgprValuA_X0_I0+4+0+0+1], v[12:15]
 // Cr += Ai*Bi
/*  mfmaIndex:15  */
v_mfma_f32_16x16x4f32 v[28+0:31+0], v[vgprValuB_X0_I0+2+0+0+1], v89, v[28:31]
 // Ci += -Ar*Bi
/* numPrefetchIter=0 */
/* dataAtIterA=-1 numReadsIterA=1 skipReadsIterA=1 readsPerIterA=2 */
/* dataAtIterB=-1 numReadsIterB=1 skipReadsIterB=1 readsPerIterB=2 */


/* iter 1 */

/*  grEndMfmaIndex:4, lwStartMfmaIndex:12, lwEndMfmaIndex:55  */
/*  numMfmaForLR:6, barrierMfmaIndex:57, LocalWritePerMfma:0.070 */
/*  mfmaIndex:16  */
v_add_f32 v89, -v[vgprValuA_X0_I0+0+2+0], 0        // Ar=-Ar
v_mfma_f32_16x16x4f32 v[0+0:3+0], v[vgprValuB_X1_I0+0+0+0], v[vgprValuA_X0_I0+0+2+0], v[0:3]
 // Cr += Ar*Br
/*  mfmaIndex:17  */
v_mfma_f32_16x16x4f32 v[16+0:19+0], v[vgprValuB_X1_I0+0+0+0], v[vgprValuA_X0_I0+0+2+0+1], v[16:19]
 // Ci += Ai*Br
/*  mfmaIndex:18  */
v_mfma_f32_16x16x4f32 v[0+0:3+0], v[vgprValuB_X1_I0+0+0+0+1], v[vgprValuA_X0_I0+0+2+0+1], v[0:3]
 // Cr += Ai*Bi
/*  mfmaIndex:19  */
v_mfma_f32_16x16x4f32 v[16+0:19+0], v[vgprValuB_X1_I0+0+0+0+1], v89, v[16:19]
 // Ci += -Ar*Bi
/*  mfmaIndex:20  */
v_mfma_f32_16x16x4f32 v[8+0:11+0], v[vgprValuB_X1_I0+2+0+0], v[vgprValuA_X0_I0+0+2+0], v[8:11]
 // Cr += Ar*Br
/*  mfmaIndex:21  */
v_mfma_f32_16x16x4f32 v[24+0:27+0], v[vgprValuB_X1_I0+2+0+0], v[vgprValuA_X0_I0+0+2+0+1], v[24:27]
 // Ci += Ai*Br
/*  mfmaIndex:22  */
v_mfma_f32_16x16x4f32 v[8+0:11+0], v[vgprValuB_X1_I0+2+0+0+1], v[vgprValuA_X0_I0+0+2+0+1], v[8:11]
 // Cr += Ai*Bi
/*  mfmaIndex:23  */
v_mfma_f32_16x16x4f32 v[24+0:27+0], v[vgprValuB_X1_I0+2+0+0+1], v89, v[24:27]
 // Ci += -Ar*Bi
/*  mfmaIndex:24  */
v_add_f32 v89, -v[vgprValuA_X0_I0+4+2+0], 0        // Ar=-Ar
v_mfma_f32_16x16x4f32 v[4+0:7+0], v[vgprValuB_X1_I0+0+0+0], v[vgprValuA_X0_I0+4+2+0], v[4:7]
 // Cr += Ar*Br
/*  mfmaIndex:25  */
v_mfma_f32_16x16x4f32 v[20+0:23+0], v[vgprValuB_X1_I0+0+0+0], v[vgprValuA_X0_I0+4+2+0+1], v[20:23]
 // Ci += Ai*Br
/*  mfmaIndex:26  */
/* sched write - iter 1 writesPerItem=1 */
s_waitcnt vmcnt(0)                                 // lgkmcnt=-1 vmcnt=0wait for global read before writing to local
_ds_store_b128 v[vgprLocalWriteAddrA], v[vgprG2LA+4:vgprG2LA+4+3] offset:4608 // lwoA_0_0_1_0 = (0*LSCA)*(MT0I+PAD) + (1*LSPA) = 4608
v_mfma_f32_16x16x4f32 v[4+0:7+0], v[vgprValuB_X1_I0+0+0+0+1], v[vgprValuA_X0_I0+4+2+0+1], v[4:7]
 // Cr += Ai*Bi
/*  mfmaIndex:27  */
v_mfma_f32_16x16x4f32 v[20+0:23+0], v[vgprValuB_X1_I0+0+0+0+1], v89, v[20:23]
 // Ci += -Ar*Bi
/*  mfmaIndex:28  */
v_mfma_f32_16x16x4f32 v[12+0:15+0], v[vgprValuB_X1_I0+2+0+0], v[vgprValuA_X0_I0+4+2+0], v[12:15]
 // Cr += Ar*Br
/*  mfmaIndex:29  */
v_mfma_f32_16x16x4f32 v[28+0:31+0], v[vgprValuB_X1_I0+2+0+0], v[vgprValuA_X0_I0+4+2+0+1], v[28:31]
 // Ci += Ai*Br
/*  mfmaIndex:30  */
v_mfma_f32_16x16x4f32 v[12+0:15+0], v[vgprValuB_X1_I0+2+0+0+1], v[vgprValuA_X0_I0+4+2+0+1], v[12:15]
 // Cr += Ai*Bi
/*  mfmaIndex:31  */
v_mfma_f32_16x16x4f32 v[28+0:31+0], v[vgprValuB_X1_I0+2+0+0+1], v89, v[28:31]
 // Ci += -Ar*Bi


/* iter 2 (reset local read pointers iteration)  (swap local read pointers iteration)  */

/*  grEndMfmaIndex:4, lwStartMfmaIndex:12, lwEndMfmaIndex:55  */
/*  numMfmaForLR:6, barrierMfmaIndex:57, LocalWritePerMfma:0.070 */
/*  mfmaIndex:32  */
v_add_f32 v89, -v[vgprValuA_X2_I0+0+0+0], 0        // Ar=-Ar
v_mfma_f32_16x16x4f32 v[0+0:3+0], v[vgprValuB_X2_I0+0+0+0], v[vgprValuA_X2_I0+0+0+0], v[0:3]
 // Cr += Ar*Br
/*  mfmaIndex:33  */
v_mfma_f32_16x16x4f32 v[16+0:19+0], v[vgprValuB_X2_I0+0+0+0], v[vgprValuA_X2_I0+0+0+0+1], v[16:19]
 // Ci += Ai*Br
/*  mfmaIndex:34  */
v_mfma_f32_16x16x4f32 v[0+0:3+0], v[vgprValuB_X2_I0+0+0+0+1], v[vgprValuA_X2_I0+0+0+0+1], v[0:3]
 // Cr += Ai*Bi
/*  mfmaIndex:35  */
v_mfma_f32_16x16x4f32 v[16+0:19+0], v[vgprValuB_X2_I0+0+0+0+1], v89, v[16:19]
 // Ci += -Ar*Bi
/*  mfmaIndex:36  */
v_mfma_f32_16x16x4f32 v[8+0:11+0], v[vgprValuB_X2_I0+2+0+0], v[vgprValuA_X2_I0+0+0+0], v[8:11]
 // Cr += Ar*Br
/*  mfmaIndex:37  */
v_mfma_f32_16x16x4f32 v[24+0:27+0], v[vgprValuB_X2_I0+2+0+0], v[vgprValuA_X2_I0+0+0+0+1], v[24:27]
 // Ci += Ai*Br
/*  mfmaIndex:38  */
v_mfma_f32_16x16x4f32 v[8+0:11+0], v[vgprValuB_X2_I0+2+0+0+1], v[vgprValuA_X2_I0+0+0+0+1], v[8:11]
 // Cr += Ai*Bi
/*  mfmaIndex:39  */
v_mfma_f32_16x16x4f32 v[24+0:27+0], v[vgprValuB_X2_I0+2+0+0+1], v89, v[24:27]
 // Ci += -Ar*Bi
/*  mfmaIndex:40  */
/* sched write - iter 2 writesPerItem=1 */
s_waitcnt vmcnt(0)                                 // lgkmcnt=-1 vmcnt=0wait for global read before writing to local
_ds_store_b128 v[vgprLocalWriteAddrB], v[vgprG2LB+0:vgprG2LB+0+3] offset:0 // lwoB_0_0_0_0 = (0*LSCB) + (0*LSPB)(*MT1J+PAD) = 0
v_add_f32 v89, -v[vgprValuA_X2_I0+4+0+0], 0        // Ar=-Ar
v_mfma_f32_16x16x4f32 v[4+0:7+0], v[vgprValuB_X2_I0+0+0+0], v[vgprValuA_X2_I0+4+0+0], v[4:7]
 // Cr += Ar*Br
/*  mfmaIndex:41  */
v_mfma_f32_16x16x4f32 v[20+0:23+0], v[vgprValuB_X2_I0+0+0+0], v[vgprValuA_X2_I0+4+0+0+1], v[20:23]
 // Ci += Ai*Br
/*  mfmaIndex:42  */
v_mfma_f32_16x16x4f32 v[4+0:7+0], v[vgprValuB_X2_I0+0+0+0+1], v[vgprValuA_X2_I0+4+0+0+1], v[4:7]
 // Cr += Ai*Bi
/*  mfmaIndex:43  */
v_mfma_f32_16x16x4f32 v[20+0:23+0], v[vgprValuB_X2_I0+0+0+0+1], v89, v[20:23]
 // Ci += -Ar*Bi
/*  mfmaIndex:44  */
v_mfma_f32_16x16x4f32 v[12+0:15+0], v[vgprValuB_X2_I0+2+0+0], v[vgprValuA_X2_I0+4+0+0], v[12:15]
 // Cr += Ar*Br
/*  mfmaIndex:45  */
v_mfma_f32_16x16x4f32 v[28+0:31+0], v[vgprValuB_X2_I0+2+0+0], v[vgprValuA_X2_I0+4+0+0+1], v[28:31]
 // Ci += Ai*Br
/*  mfmaIndex:46  */
v_mfma_f32_16x16x4f32 v[12+0:15+0], v[vgprValuB_X2_I0+2+0+0+1], v[vgprValuA_X2_I0+4+0+0+1], v[12:15]
 // Cr += Ai*Bi
/*  mfmaIndex:47  */

/* local read swap offsets a */

/* local read swap offsets b */

/* local read init pointers a */

/* localReadInitPointers */

/* local read init pointers b */

/* localReadInitPointers */
v_mfma_f32_16x16x4f32 v[28+0:31+0], v[vgprValuB_X2_I0+2+0+0+1], v89, v[28:31]
 // Ci += -Ar*Bi


/* iter 3 (swap and reset local write pointers iteration)  */

/*  grEndMfmaIndex:4, lwStartMfmaIndex:12, lwEndMfmaIndex:55  */
/*  numMfmaForLR:6, barrierMfmaIndex:57, LocalWritePerMfma:0.070 */
/*  mfmaIndex:48  */
v_add_f32 v89, -v[vgprValuA_X2_I0+0+2+0], 0        // Ar=-Ar
v_mfma_f32_16x16x4f32 v[0+0:3+0], v[vgprValuB_X3_I0+0+0+0], v[vgprValuA_X2_I0+0+2+0], v[0:3]
 // Cr += Ar*Br
/*  mfmaIndex:49  */
v_mfma_f32_16x16x4f32 v[16+0:19+0], v[vgprValuB_X3_I0+0+0+0], v[vgprValuA_X2_I0+0+2+0+1], v[16:19]
 // Ci += Ai*Br
/*  mfmaIndex:50  */
v_mfma_f32_16x16x4f32 v[0+0:3+0], v[vgprValuB_X3_I0+0+0+0+1], v[vgprValuA_X2_I0+0+2+0+1], v[0:3]
 // Cr += Ai*Bi
/*  mfmaIndex:51  */
v_mfma_f32_16x16x4f32 v[16+0:19+0], v[vgprValuB_X3_I0+0+0+0+1], v89, v[16:19]
 // Ci += -Ar*Bi
/*  mfmaIndex:52  */
v_mfma_f32_16x16x4f32 v[8+0:11+0], v[vgprValuB_X3_I0+2+0+0], v[vgprValuA_X2_I0+0+2+0], v[8:11]
 // Cr += Ar*Br
/*  mfmaIndex:53  */
v_mfma_f32_16x16x4f32 v[24+0:27+0], v[vgprValuB_X3_I0+2+0+0], v[vgprValuA_X2_I0+0+2+0+1], v[24:27]
 // Ci += Ai*Br
/*  mfmaIndex:54  */
/* sched write - iter 3 writesPerItem=1 */
s_waitcnt vmcnt(0)                                 // lgkmcnt=-1 vmcnt=0wait for global read before writing to local
_ds_store_b128 v[vgprLocalWriteAddrB], v[vgprG2LB+4:vgprG2LB+4+3] offset:4096 // lwoB_0_0_1_0 = (0*LSCB) + (1*LSPB)(*MT1J+PAD) = 4096
v_mfma_f32_16x16x4f32 v[8+0:11+0], v[vgprValuB_X3_I0+2+0+0+1], v[vgprValuA_X2_I0+0+2+0+1], v[8:11]
 // Cr += Ai*Bi
/*  mfmaIndex:55  */

/* local write swap offsets a */

/* local write swap offsets b */
v_mfma_f32_16x16x4f32 v[24+0:27+0], v[vgprValuB_X3_I0+2+0+0+1], v89, v[24:27]
 // Ci += -Ar*Bi
/*  mfmaIndex:56  */
v_add_f32 v89, -v[vgprValuA_X2_I0+4+2+0], 0        // Ar=-Ar
v_mfma_f32_16x16x4f32 v[4+0:7+0], v[vgprValuB_X3_I0+0+0+0], v[vgprValuA_X2_I0+4+2+0], v[4:7]
 // Cr += Ar*Br
s_setprio 0                                        // store optimization
/*  mfmaIndex:57  */
s_waitcnt lgkmcnt(0)                               // lgkmcnt=0 vmcnt=-13wait for local write
// Skip force waitcnt0
s_barrier //
v_mfma_f32_16x16x4f32 v[20+0:23+0], v[vgprValuB_X3_I0+0+0+0], v[vgprValuA_X2_I0+4+2+0+1], v[20:23]
 // Ci += Ai*Br
/*  mfmaIndex:58  */
s_setprio 3                                        // store optimization
_ds_load_b128 v[vgprValuA_X0_I0+0:vgprValuA_X0_I0+0+3], v[vgprLocalReadAddrA] offset:0 // L -> Reg lro=0 swapByteOffset=0 ti=64 vIdx=0 rIdx=0 oIdx=0 buffer=0 iui=0
v_mfma_f32_16x16x4f32 v[4+0:7+0], v[vgprValuB_X3_I0+0+0+0+1], v[vgprValuA_X2_I0+4+2+0+1], v[4:7]
 // Cr += Ai*Bi
/*  mfmaIndex:59  */
_ds_load_b64 v[vgprValuB_X0_I0+0:vgprValuB_X0_I0+0+1], v[vgprLocalReadAddrB] offset:0 // L -> Reg lro=0 swapByteOffset=0 ti=32 vIdx=0 rIdx=0 oIdx=0 buffer=0 iui=0
v_mfma_f32_16x16x4f32 v[20+0:23+0], v[vgprValuB_X3_I0+0+0+0+1], v89, v[20:23]
 // Ci += -Ar*Bi
/*  mfmaIndex:60  */
_ds_load_b128 v[vgprValuA_X0_I0+4:vgprValuA_X0_I0+4+3], v[vgprLocalReadAddrA] offset:144 // L -> Reg lro=0 swapByteOffset=0 ti=64 vIdx=0 rIdx=0 oIdx=0 buffer=0 iui=0
v_mfma_f32_16x16x4f32 v[12+0:15+0], v[vgprValuB_X3_I0+2+0+0], v[vgprValuA_X2_I0+4+2+0], v[12:15]
 // Cr += Ar*Br
/*  mfmaIndex:61  */
_ds_load_b64 v[vgprValuB_X0_I0+2:vgprValuB_X0_I0+2+1], v[vgprLocalReadAddrB] offset:256 // L -> Reg lro=0 swapByteOffset=0 ti=32 vIdx=1 rIdx=0 oIdx=0 buffer=0 iui=0
v_mfma_f32_16x16x4f32 v[28+0:31+0], v[vgprValuB_X3_I0+2+0+0], v[vgprValuA_X2_I0+4+2+0+1], v[28:31]
 // Ci += Ai*Br
/*  mfmaIndex:62  */
v_mfma_f32_16x16x4f32 v[12+0:15+0], v[vgprValuB_X3_I0+2+0+0+1], v[vgprValuA_X2_I0+4+2+0+1], v[12:15]
 // Cr += Ai*Bi
/*  mfmaIndex:63  */
v_mfma_f32_16x16x4f32 v[28+0:31+0], v[vgprValuB_X3_I0+2+0+0+1], v89, v[28:31]
 // Ci += -Ar*Bi
s_setprio 0                                        // store optimization

label_0014:


/******************************************/
/* Opt. NoLoadLoop Without PAP - Begin                                      */
/******************************************/

s_mov_b32 s32, s[sgprBeta+0]                       // tmp = Beta[0]
s_or_b32 s32, s[sgprBeta+1], s32                   // tmp |= Beta[1] 
s_cmpk_eq_u32 s32, 0x0                             // Beta == 0
s_cbranch_scc0 OptNLL_End_17                       // Branch if Beta is not zero

s_mov_b32 s32, 1.0                                 // Real part of 1.0
s_mov_b32 s33, 0.0                                 // Imaginary part of 1.0
s_cmp_eq_u64 s[sgprAlpha:sgprAlpha+1], s[32:33]    // Alpha == 1.0 ?
s_cbranch_scc0 OptNLL_End_17                       // branch if alpha != 1

s_and_b32 s32, 63, s[sgprSizeI]                    // s32 = s[sgprSizeI] % 64
s_add_u32 s33, -0x1, s[sgprNumWorkGroups0]         // 
s_cmp_ge_u32 s[sgprWorkGroup0], s33                // wg0 >= nwg0-1 ?
s_cselect_b32 s32, s32, 0                          // set rMT0
s_cmpk_gt_u32 s32, 0x0                             // rMT0 > 0
s_cbranch_scc1 OptNLL_End_17                       // jump if edges required
s_and_b32 s32, 63, s[sgprSizeJ]                    // s32 = s[sgprSizeJ] % 64
s_add_u32 s33, -0x1, s[sgprNumWorkGroups1]         // 
s_cmp_ge_u32 s[sgprWorkGroup1], s33                // wg1 >= nwg1-1
s_cselect_b32 s32, s32, 0                          // set rMT1
s_cmpk_gt_u32 s32, 0x0                             // rMT1 > 0
s_cbranch_scc1 OptNLL_End_17                       // jump if edges required

s_and_b32 s33, 15, s[sgprSizesSum+0]               // s33 = s[sgprSizesSum+0] % 16
s_cmp_eq_u32 s33, 0x0                              // numIterL == 0
s_cbranch_scc0 OptNLL_End_17                       // skip if tail loop required


	;; [unrolled: 1-line block ×3, first 2 shown]
/* iter 0 (last unrolled loop) */

/*  grEndMfmaIndex:0, lwStartMfmaIndex:55, lwEndMfmaIndex:55  */
/*  numMfmaForLR:6, barrierMfmaIndex:57, LocalWritePerMfma:0.070 */
/*  mfmaIndex:0  */
s_waitcnt lgkmcnt(0)                               // lgkmcnt=0 vmcnt=-1wait for prior local read local write old=0, new=0 newLW=0 newLR=0
v_add_f32 v89, -v[vgprValuA_X0_I0+0+0+0], 0        // Ar=-Ar
v_mfma_f32_16x16x4f32 v[0+0:3+0], v[vgprValuB_X0_I0+0+0+0], v[vgprValuA_X0_I0+0+0+0], v[0:3]
 // Cr += Ar*Br
/*  mfmaIndex:1  */
_ds_load_b128 v[vgprValuA_X2_I0+0:vgprValuA_X2_I0+0+3], v[vgprLocalReadAddrA] offset:64 // L -> Reg lro=8 swapByteOffset=0 ti=64 vIdx=0 rIdx=0 oIdx=0 buffer=2 iui=0
v_mfma_f32_16x16x4f32 v[16+0:19+0], v[vgprValuB_X0_I0+0+0+0], v[vgprValuA_X0_I0+0+0+0+1], v[16:19]
 // Ci += Ai*Br
/*  mfmaIndex:2  */
_ds_load_b64 v[vgprValuB_X1_I0+0:vgprValuB_X1_I0+0+1], v[vgprLocalReadAddrB] offset:512 // L -> Reg lro=64 swapByteOffset=0 ti=32 vIdx=0 rIdx=0 oIdx=0 buffer=1 iui=0
v_mfma_f32_16x16x4f32 v[0+0:3+0], v[vgprValuB_X0_I0+0+0+0+1], v[vgprValuA_X0_I0+0+0+0+1], v[0:3]
 // Cr += Ai*Bi
/*  mfmaIndex:3  */
_ds_load_b128 v[vgprValuA_X2_I0+4:vgprValuA_X2_I0+4+3], v[vgprLocalReadAddrA] offset:208 // L -> Reg lro=8 swapByteOffset=0 ti=64 vIdx=0 rIdx=0 oIdx=0 buffer=2 iui=0
v_mfma_f32_16x16x4f32 v[16+0:19+0], v[vgprValuB_X0_I0+0+0+0+1], v89, v[16:19]
 // Ci += -Ar*Bi
/*  mfmaIndex:4  */
_ds_load_b64 v[vgprValuB_X1_I0+2:vgprValuB_X1_I0+2+1], v[vgprLocalReadAddrB] offset:768 // L -> Reg lro=64 swapByteOffset=0 ti=32 vIdx=1 rIdx=0 oIdx=0 buffer=1 iui=0
/* localReadsVacancy: latencyLeft 3 */
_ds_load_b64 v[vgprValuB_X2_I0+0:vgprValuB_X2_I0+0+1], v[vgprLocalReadAddrB] offset:4096 // L -> Reg lro=512 swapByteOffset=0 ti=32 vIdx=0 rIdx=0 oIdx=0 buffer=2 iui=0
v_mfma_f32_16x16x4f32 v[8+0:11+0], v[vgprValuB_X0_I0+2+0+0], v[vgprValuA_X0_I0+0+0+0], v[8:11]
 // Cr += Ar*Br
/*  mfmaIndex:5  */
/* localReadsVacancy: latencyLeft 5 */
_ds_load_b64 v[vgprValuB_X2_I0+2:vgprValuB_X2_I0+2+1], v[vgprLocalReadAddrB] offset:4352 // L -> Reg lro=512 swapByteOffset=0 ti=32 vIdx=1 rIdx=0 oIdx=0 buffer=2 iui=0
_ds_load_b64 v[vgprValuB_X3_I0+0:vgprValuB_X3_I0+0+1], v[vgprLocalReadAddrB] offset:4608 // L -> Reg lro=576 swapByteOffset=0 ti=32 vIdx=0 rIdx=0 oIdx=0 buffer=3 iui=0
v_mfma_f32_16x16x4f32 v[24+0:27+0], v[vgprValuB_X0_I0+2+0+0], v[vgprValuA_X0_I0+0+0+0+1], v[24:27]
 // Ci += Ai*Br
/*  mfmaIndex:6  */
/* localReadsVacancy: latencyLeft 5 */
_ds_load_b64 v[vgprValuB_X3_I0+2:vgprValuB_X3_I0+2+1], v[vgprLocalReadAddrB] offset:4864 // L -> Reg lro=576 swapByteOffset=0 ti=32 vIdx=1 rIdx=0 oIdx=0 buffer=3 iui=0
v_mfma_f32_16x16x4f32 v[8+0:11+0], v[vgprValuB_X0_I0+2+0+0+1], v[vgprValuA_X0_I0+0+0+0+1], v[8:11]
 // Cr += Ai*Bi
/*  mfmaIndex:7  */
/* localReadsVacancy: latencyLeft 5 */
v_mfma_f32_16x16x4f32 v[24+0:27+0], v[vgprValuB_X0_I0+2+0+0+1], v89, v[24:27]
 // Ci += -Ar*Bi
/*  mfmaIndex:8  */
/* localReadsVacancy: latencyLeft 5 */
v_add_f32 v89, -v[vgprValuA_X0_I0+4+0+0], 0        // Ar=-Ar
v_mfma_f32_16x16x4f32 v[4+0:7+0], v[vgprValuB_X0_I0+0+0+0], v[vgprValuA_X0_I0+4+0+0], v[4:7]
 // Cr += Ar*Br
/*  mfmaIndex:9  */
/* localReadsVacancy: latencyLeft 5 */
v_mfma_f32_16x16x4f32 v[20+0:23+0], v[vgprValuB_X0_I0+0+0+0], v[vgprValuA_X0_I0+4+0+0+1], v[20:23]
 // Ci += Ai*Br
/*  mfmaIndex:10  */
/* localReadsVacancy: latencyLeft 5 */
v_mfma_f32_16x16x4f32 v[4+0:7+0], v[vgprValuB_X0_I0+0+0+0+1], v[vgprValuA_X0_I0+4+0+0+1], v[4:7]
 // Cr += Ai*Bi
/*  mfmaIndex:11  */
/* localReadsVacancy: latencyLeft 5 */
v_mfma_f32_16x16x4f32 v[20+0:23+0], v[vgprValuB_X0_I0+0+0+0+1], v89, v[20:23]
 // Ci += -Ar*Bi
/*  mfmaIndex:12  */
/* localReadsVacancy: latencyLeft 5 */
v_mfma_f32_16x16x4f32 v[12+0:15+0], v[vgprValuB_X0_I0+2+0+0], v[vgprValuA_X0_I0+4+0+0], v[12:15]
 // Cr += Ar*Br
/*  mfmaIndex:13  */
/* localReadsVacancy: latencyLeft 5 */
v_mfma_f32_16x16x4f32 v[28+0:31+0], v[vgprValuB_X0_I0+2+0+0], v[vgprValuA_X0_I0+4+0+0+1], v[28:31]
 // Ci += Ai*Br
/*  mfmaIndex:14  */
/* localReadsVacancy: latencyLeft 5 */
v_mfma_f32_16x16x4f32 v[12+0:15+0], v[vgprValuB_X0_I0+2+0+0+1], v[vgprValuA_X0_I0+4+0+0+1], v[12:15]
 // Cr += Ai*Bi
/*  mfmaIndex:15  */
/* localReadsVacancy: latencyLeft 5 */
v_mfma_f32_16x16x4f32 v[28+0:31+0], v[vgprValuB_X0_I0+2+0+0+1], v89, v[28:31]
 // Ci += -Ar*Bi
/* numPrefetchIter=0 */
/* dataAtIterA=-1 numReadsIterA=1 skipReadsIterA=1 readsPerIterA=2 */
/* dataAtIterB=-1 numReadsIterB=1 skipReadsIterB=1 readsPerIterB=2 */


/* iter 1 (last unrolled loop) */

/*  grEndMfmaIndex:0, lwStartMfmaIndex:55, lwEndMfmaIndex:55  */
/*  numMfmaForLR:6, barrierMfmaIndex:57, LocalWritePerMfma:0.070 */
/*  mfmaIndex:16  */
/* localReadsVacancy: latencyLeft 5 */
s_waitcnt lgkmcnt(4)                               // lgkmcnt=0 vmcnt=-1wait for prior local read local write old=2, new=2 newLW=0 newLR=0
v_add_f32 v89, -v[vgprValuA_X0_I0+0+2+0], 0        // Ar=-Ar
v_mfma_f32_16x16x4f32 v[0+0:3+0], v[vgprValuB_X1_I0+0+0+0], v[vgprValuA_X0_I0+0+2+0], v[0:3]
 // Cr += Ar*Br
/*  mfmaIndex:17  */
/* localReadsVacancy: latencyLeft 5 */
v_mfma_f32_16x16x4f32 v[16+0:19+0], v[vgprValuB_X1_I0+0+0+0], v[vgprValuA_X0_I0+0+2+0+1], v[16:19]
 // Ci += Ai*Br
/*  mfmaIndex:18  */
/* localReadsVacancy: latencyLeft 5 */
v_mfma_f32_16x16x4f32 v[0+0:3+0], v[vgprValuB_X1_I0+0+0+0+1], v[vgprValuA_X0_I0+0+2+0+1], v[0:3]
 // Cr += Ai*Bi
/*  mfmaIndex:19  */
/* localReadsVacancy: latencyLeft 5 */
v_mfma_f32_16x16x4f32 v[16+0:19+0], v[vgprValuB_X1_I0+0+0+0+1], v89, v[16:19]
 // Ci += -Ar*Bi
/*  mfmaIndex:20  */
/* localReadsVacancy: latencyLeft 5 */
v_mfma_f32_16x16x4f32 v[8+0:11+0], v[vgprValuB_X1_I0+2+0+0], v[vgprValuA_X0_I0+0+2+0], v[8:11]
 // Cr += Ar*Br
/*  mfmaIndex:21  */
/* localReadsVacancy: latencyLeft 5 */
v_mfma_f32_16x16x4f32 v[24+0:27+0], v[vgprValuB_X1_I0+2+0+0], v[vgprValuA_X0_I0+0+2+0+1], v[24:27]
 // Ci += Ai*Br
/*  mfmaIndex:22  */
/* localReadsVacancy: latencyLeft 5 */
v_mfma_f32_16x16x4f32 v[8+0:11+0], v[vgprValuB_X1_I0+2+0+0+1], v[vgprValuA_X0_I0+0+2+0+1], v[8:11]
 // Cr += Ai*Bi
/*  mfmaIndex:23  */
/* localReadsVacancy: latencyLeft 5 */
v_mfma_f32_16x16x4f32 v[24+0:27+0], v[vgprValuB_X1_I0+2+0+0+1], v89, v[24:27]
 // Ci += -Ar*Bi
/*  mfmaIndex:24  */
/* localReadsVacancy: latencyLeft 5 */
v_add_f32 v89, -v[vgprValuA_X0_I0+4+2+0], 0        // Ar=-Ar
v_mfma_f32_16x16x4f32 v[4+0:7+0], v[vgprValuB_X1_I0+0+0+0], v[vgprValuA_X0_I0+4+2+0], v[4:7]
 // Cr += Ar*Br
/*  mfmaIndex:25  */
/* localReadsVacancy: latencyLeft 5 */
v_mfma_f32_16x16x4f32 v[20+0:23+0], v[vgprValuB_X1_I0+0+0+0], v[vgprValuA_X0_I0+4+2+0+1], v[20:23]
 // Ci += Ai*Br
/*  mfmaIndex:26  */
/* localReadsVacancy: latencyLeft 5 */
v_mfma_f32_16x16x4f32 v[4+0:7+0], v[vgprValuB_X1_I0+0+0+0+1], v[vgprValuA_X0_I0+4+2+0+1], v[4:7]
 // Cr += Ai*Bi
/*  mfmaIndex:27  */
/* localReadsVacancy: latencyLeft 5 */
v_mfma_f32_16x16x4f32 v[20+0:23+0], v[vgprValuB_X1_I0+0+0+0+1], v89, v[20:23]
 // Ci += -Ar*Bi
/*  mfmaIndex:28  */
/* localReadsVacancy: latencyLeft 5 */
v_mfma_f32_16x16x4f32 v[12+0:15+0], v[vgprValuB_X1_I0+2+0+0], v[vgprValuA_X0_I0+4+2+0], v[12:15]
 // Cr += Ar*Br
/*  mfmaIndex:29  */
/* localReadsVacancy: latencyLeft 5 */
v_mfma_f32_16x16x4f32 v[28+0:31+0], v[vgprValuB_X1_I0+2+0+0], v[vgprValuA_X0_I0+4+2+0+1], v[28:31]
 // Ci += Ai*Br
/*  mfmaIndex:30  */
/* localReadsVacancy: latencyLeft 5 */
v_mfma_f32_16x16x4f32 v[12+0:15+0], v[vgprValuB_X1_I0+2+0+0+1], v[vgprValuA_X0_I0+4+2+0+1], v[12:15]
 // Cr += Ai*Bi
/*  mfmaIndex:31  */
/* localReadsVacancy: latencyLeft 5 */
v_mfma_f32_16x16x4f32 v[28+0:31+0], v[vgprValuB_X1_I0+2+0+0+1], v89, v[28:31]
 // Ci += -Ar*Bi
/* numPrefetchIter=0 */
/* dataAtIterA=-1 numReadsIterA=1 skipReadsIterA=0 readsPerIterA=2 */
/* dataAtIterB=0 numReadsIterB=2 skipReadsIterB=1 readsPerIterB=2 */


/* iter 2 (last unrolled loop) */

/*  grEndMfmaIndex:0, lwStartMfmaIndex:55, lwEndMfmaIndex:55  */
/*  numMfmaForLR:6, barrierMfmaIndex:57, LocalWritePerMfma:0.070 */
/*  mfmaIndex:32  */
/* localReadsVacancy: latencyLeft 5 */
s_waitcnt lgkmcnt(0)                               // lgkmcnt=0 vmcnt=-1wait for prior local read local write old=0, new=0 newLW=0 newLR=0
v_add_f32 v89, -v[vgprValuA_X2_I0+0+0+0], 0        // Ar=-Ar
v_mfma_f32_16x16x4f32 v[0+0:3+0], v[vgprValuB_X2_I0+0+0+0], v[vgprValuA_X2_I0+0+0+0], v[0:3]
 // Cr += Ar*Br
/*  mfmaIndex:33  */
/* localReadsVacancy: latencyLeft 5 */
v_mfma_f32_16x16x4f32 v[16+0:19+0], v[vgprValuB_X2_I0+0+0+0], v[vgprValuA_X2_I0+0+0+0+1], v[16:19]
 // Ci += Ai*Br
/*  mfmaIndex:34  */
/* localReadsVacancy: latencyLeft 5 */
v_mfma_f32_16x16x4f32 v[0+0:3+0], v[vgprValuB_X2_I0+0+0+0+1], v[vgprValuA_X2_I0+0+0+0+1], v[0:3]
 // Cr += Ai*Bi
/*  mfmaIndex:35  */
/* localReadsVacancy: latencyLeft 5 */
v_mfma_f32_16x16x4f32 v[16+0:19+0], v[vgprValuB_X2_I0+0+0+0+1], v89, v[16:19]
 // Ci += -Ar*Bi
/*  mfmaIndex:36  */
/* localReadsVacancy: latencyLeft 5 */
v_mfma_f32_16x16x4f32 v[8+0:11+0], v[vgprValuB_X2_I0+2+0+0], v[vgprValuA_X2_I0+0+0+0], v[8:11]
 // Cr += Ar*Br
/*  mfmaIndex:37  */
/* localReadsVacancy: latencyLeft 5 */
v_mfma_f32_16x16x4f32 v[24+0:27+0], v[vgprValuB_X2_I0+2+0+0], v[vgprValuA_X2_I0+0+0+0+1], v[24:27]
 // Ci += Ai*Br
/*  mfmaIndex:38  */
/* localReadsVacancy: latencyLeft 5 */
v_mfma_f32_16x16x4f32 v[8+0:11+0], v[vgprValuB_X2_I0+2+0+0+1], v[vgprValuA_X2_I0+0+0+0+1], v[8:11]
 // Cr += Ai*Bi
/*  mfmaIndex:39  */
/* localReadsVacancy: latencyLeft 5 */
v_mfma_f32_16x16x4f32 v[24+0:27+0], v[vgprValuB_X2_I0+2+0+0+1], v89, v[24:27]
 // Ci += -Ar*Bi
/*  mfmaIndex:40  */
/* localReadsVacancy: latencyLeft 5 */
v_add_f32 v89, -v[vgprValuA_X2_I0+4+0+0], 0        // Ar=-Ar
v_mfma_f32_16x16x4f32 v[4+0:7+0], v[vgprValuB_X2_I0+0+0+0], v[vgprValuA_X2_I0+4+0+0], v[4:7]
 // Cr += Ar*Br
/*  mfmaIndex:41  */
/* localReadsVacancy: latencyLeft 5 */
v_mfma_f32_16x16x4f32 v[20+0:23+0], v[vgprValuB_X2_I0+0+0+0], v[vgprValuA_X2_I0+4+0+0+1], v[20:23]
 // Ci += Ai*Br
/*  mfmaIndex:42  */
/* localReadsVacancy: latencyLeft 5 */
v_mfma_f32_16x16x4f32 v[4+0:7+0], v[vgprValuB_X2_I0+0+0+0+1], v[vgprValuA_X2_I0+4+0+0+1], v[4:7]
 // Cr += Ai*Bi
/*  mfmaIndex:43  */
/* localReadsVacancy: latencyLeft 5 */
v_mfma_f32_16x16x4f32 v[20+0:23+0], v[vgprValuB_X2_I0+0+0+0+1], v89, v[20:23]
 // Ci += -Ar*Bi
/*  mfmaIndex:44  */
/* localReadsVacancy: latencyLeft 5 */
v_mfma_f32_16x16x4f32 v[12+0:15+0], v[vgprValuB_X2_I0+2+0+0], v[vgprValuA_X2_I0+4+0+0], v[12:15]
 // Cr += Ar*Br
/*  mfmaIndex:45  */
/* localReadsVacancy: latencyLeft 5 */
v_mfma_f32_16x16x4f32 v[28+0:31+0], v[vgprValuB_X2_I0+2+0+0], v[vgprValuA_X2_I0+4+0+0+1], v[28:31]
 // Ci += Ai*Br
/*  mfmaIndex:46  */
/* localReadsVacancy: latencyLeft 5 */
v_mfma_f32_16x16x4f32 v[12+0:15+0], v[vgprValuB_X2_I0+2+0+0+1], v[vgprValuA_X2_I0+4+0+0+1], v[12:15]
 // Cr += Ai*Bi
/*  mfmaIndex:47  */
/* localReadsVacancy: latencyLeft 5 */
v_mfma_f32_16x16x4f32 v[28+0:31+0], v[vgprValuB_X2_I0+2+0+0+1], v89, v[28:31]
 // Ci += -Ar*Bi
/* numPrefetchIter=0 */
/* dataAtIterA=0 numReadsIterA=1 skipReadsIterA=0 readsPerIterA=2 */
/* dataAtIterB=1 numReadsIterB=3 skipReadsIterB=1 readsPerIterB=2 */


/* iter 3 (last unrolled loop) */

/*  grEndMfmaIndex:0, lwStartMfmaIndex:55, lwEndMfmaIndex:55  */
/*  numMfmaForLR:6, barrierMfmaIndex:57, LocalWritePerMfma:0.070 */
/*  mfmaIndex:48  */
s_waitcnt lgkmcnt(0)                               // lgkmcnt=0 vmcnt=-1wait for prior local read local write old=0, new=0 newLW=0 newLR=0
v_add_f32 v89, -v[vgprValuA_X2_I0+0+2+0], 0        // Ar=-Ar
v_mfma_f32_16x16x4f32 v[0+0:3+0], v[vgprValuB_X3_I0+0+0+0], v[vgprValuA_X2_I0+0+2+0], v[0:3]
 // Cr += Ar*Br
/*  mfmaIndex:49  */
v_mfma_f32_16x16x4f32 v[16+0:19+0], v[vgprValuB_X3_I0+0+0+0], v[vgprValuA_X2_I0+0+2+0+1], v[16:19]
 // Ci += Ai*Br
/*  mfmaIndex:50  */
v_mfma_f32_16x16x4f32 v[0+0:3+0], v[vgprValuB_X3_I0+0+0+0+1], v[vgprValuA_X2_I0+0+2+0+1], v[0:3]
 // Cr += Ai*Bi
/*  mfmaIndex:51  */
v_mfma_f32_16x16x4f32 v[16+0:19+0], v[vgprValuB_X3_I0+0+0+0+1], v89, v[16:19]
 // Ci += -Ar*Bi
/*  mfmaIndex:52  */
v_mfma_f32_16x16x4f32 v[8+0:11+0], v[vgprValuB_X3_I0+2+0+0], v[vgprValuA_X2_I0+0+2+0], v[8:11]
 // Cr += Ar*Br
/*  mfmaIndex:53  */
v_mfma_f32_16x16x4f32 v[24+0:27+0], v[vgprValuB_X3_I0+2+0+0], v[vgprValuA_X2_I0+0+2+0+1], v[24:27]
 // Ci += Ai*Br
/*  mfmaIndex:54  */
/* 1 LDS buffer: read-sync-write */
s_waitcnt lgkmcnt(0)                               // 
s_barrier                                          // 
v_mfma_f32_16x16x4f32 v[8+0:11+0], v[vgprValuB_X3_I0+2+0+0+1], v[vgprValuA_X2_I0+0+2+0+1], v[8:11]
 // Cr += Ai*Bi
/*  mfmaIndex:55  */
s_setprio 3                                        // store optimization
v_mfma_f32_16x16x4f32 v[24+0:27+0], v[vgprValuB_X3_I0+2+0+0+1], v89, v[24:27]
 // Ci += -Ar*Bi
/*  mfmaIndex:56  */
v_add_f32 v89, -v[vgprValuA_X2_I0+4+2+0], 0        // Ar=-Ar
v_mfma_f32_16x16x4f32 v[4+0:7+0], v[vgprValuB_X3_I0+0+0+0], v[vgprValuA_X2_I0+4+2+0], v[4:7]
 // Cr += Ar*Br
s_setprio 0                                        // store optimization
/*  mfmaIndex:57  */
v_mfma_f32_16x16x4f32 v[20+0:23+0], v[vgprValuB_X3_I0+0+0+0], v[vgprValuA_X2_I0+4+2+0+1], v[20:23]
 // Ci += Ai*Br
/*  mfmaIndex:58  */
s_setprio 3                                        // store optimization
v_mfma_f32_16x16x4f32 v[4+0:7+0], v[vgprValuB_X3_I0+0+0+0+1], v[vgprValuA_X2_I0+4+2+0+1], v[4:7]
 // Cr += Ai*Bi
/*  mfmaIndex:59  */
v_mfma_f32_16x16x4f32 v[20+0:23+0], v[vgprValuB_X3_I0+0+0+0+1], v89, v[20:23]
 // Ci += -Ar*Bi
/*  mfmaIndex:60  */
v_mfma_f32_16x16x4f32 v[12+0:15+0], v[vgprValuB_X3_I0+2+0+0], v[vgprValuA_X2_I0+4+2+0], v[12:15]
 // Cr += Ar*Br
/*  mfmaIndex:61  */
v_mfma_f32_16x16x4f32 v[28+0:31+0], v[vgprValuB_X3_I0+2+0+0], v[vgprValuA_X2_I0+4+2+0+1], v[28:31]
 // Ci += Ai*Br
/*  mfmaIndex:62  */
v_mfma_f32_16x16x4f32 v[12+0:15+0], v[vgprValuB_X3_I0+2+0+0+1], v[vgprValuA_X2_I0+4+2+0+1], v[12:15]
 // Cr += Ai*Bi
/*  mfmaIndex:63  */
v_mfma_f32_16x16x4f32 v[28+0:31+0], v[vgprValuB_X3_I0+2+0+0+1], v89, v[28:31]
 // Ci += -Ar*Bi
/* numPrefetchIter=0 */
/* dataAtIterA=0 numReadsIterA=1 skipReadsIterA=0 readsPerIterA=2 */
/* dataAtIterB=2 numReadsIterB=3 skipReadsIterB=0 readsPerIterB=2 */

/* Stores for OptNLL */
Summation_End_OptNLL_18:
s_setprio 0                                        // optimization store
/* endSummation: add vgpr [32...86) to pool */
.set NumFullBlocks, UNDEF
.set WgmRemainder1, UNDEF
.set MagicNumberWgmRemainder1, UNDEF

/* Mapping of Acc register -> C Vgpr register */

/* Multiply MI out register with Alpha -> C Vgpr register */
/* computeStoreVgprs */
v_lshrrev_b32 v36, 6, v[vgprSerial]                // v36 = v[vgprSerial] / 64
v_and_b32 v33, 63, v[vgprSerial]                   // v33 = v[vgprSerial] % 64
v_lshrrev_b32 v33, 4, v33                          // v33 = v33 / 16
v_lshlrev_b32 v33, 0x2, v33                        // thread0 * continuous_output
v_lshrrev_b32 v37, 1, v36                          // v37 = v36 / 2
v_mul_lo_u32 v37, 0x10, v37                        // wave coordination offset 1
_v_add_lshl_u32 v33, v37, v33, 0                   // coordination 1 = vwb *(wave_id1 + tid1)
v_mul_lo_u32 v34, v33, s[sgprStrideC1J]            //  offset 1
v_mul_lo_u32 v35, v33, s[sgprStrideD1J]            //  offset 1
v_and_b32 v37, 1, v36                              // v37 = v36 % 2
v_mul_lo_u32 v37, 0x10, v37                        // wave coordination offset 0
v_and_b32 v32, 15, v[vgprSerial]                   // v32 = v[vgprSerial] % 16
_v_add_lshl_u32 v32, v37, v32, 1                   // coordination 0 = vwa *(wave_id0 + tid0)
s_mul_i32 s31, 64, s[sgprWorkGroup0]               // wgp0 * MT0
_v_add_u32 v32, s31, v32                           // coord 0 = (tid0/MI_m)*4 + waveG0*MIB_m + MT0*SG0
s_mul_i32 s31, 64, s[sgprWorkGroup1]               // wgp1 * MT1
_v_add_u32 v33, s31, v33                           // coord 1 = (tid0%MI_m) + waveG1*MIB_n + MT1*SG1
GW_B0_E0_21:

/* edge=0, allocate 2 sgpr. perBatchTmpS=2 perBatchMaskS=0 perElementMaskS=0 elementsPerBatch=30 */
/* optSingleColVgpr=1 optSharedColVgpr=0 optSGPRUsage=BufferLoad_Mask optSrdIncForRow=1 */
s_sleep 3 // optimization: sync and wait
s_barrier

/******************************************/
/* Global Write Batch #0 (d1,d0,vc1,vc0) = */
/*    (0,0,0,0:vw2); (0,0,1,0:vw2); (0,0,2,0:vw2); (0,0,3,0:vw2); (1,0,0,0:vw2); (1,0,1,0:vw2); (1,0,2,0:vw2); (1,0,3,0:vw2) */
/******************************************/

/* calc coords, apply mask, and issue loads (if necessary) */
/* (d1,vc1,d0,vc0)=(0,0,0,0) */
/* (d1,vc1,d0,vc0)=(0,1,0,0) */
	;; [unrolled: 1-line block ×8, first 2 shown]
_v_add_lshl_u32 v38, v35, v32, 0x3                 // optSingleColVgpr scaleToBpe: sharedAddrVgpr <- cinRowPtr + coord0, scaled by BPE. BSHERE:coord0=32, coord0Vgpr=32
v_mov_b32 v[vgprValuC+40], v[vgprValuC+0] // copy MI out reg to vreg[0]
v_mov_b32 v[vgprValuC+41], v[vgprValuC+16] // copy MI out reg to vreg[1]
	;; [unrolled: 1-line block ×32, first 2 shown]

/* apply mask, calc new C and issue writes */
_buffer_store_b128 v[40:43], v38, s[sgprSrdD:sgprSrdD+3], 0, offen, offset:0,  glc slc // store D
s_lshl_b32  s32, s[sgprStrideD1J], 3               // incToNextRow: Scale by BPE
s_add_u32  s[sgprSrdD+0], s[sgprSrdD+0], s32       // incToNextRow: gra SRD += inc(lower)
s_addc_u32  s[sgprSrdD+1], s[sgprSrdD+1], 0        // incToNextRow: gra SRD += inc(upper)
_buffer_store_b128 v[44:47], v38, s[sgprSrdD:sgprSrdD+3], 0, offen, offset:0,  glc slc // store D
s_lshl_b32  s32, s[sgprStrideD1J], 3               // incToNextRow: Scale by BPE
s_add_u32  s[sgprSrdD+0], s[sgprSrdD+0], s32       // incToNextRow: gra SRD += inc(lower)
s_addc_u32  s[sgprSrdD+1], s[sgprSrdD+1], 0        // incToNextRow: gra SRD += inc(upper)
	;; [unrolled: 4-line block ×3, first 2 shown]
_buffer_store_b128 v[52:55], v38, s[sgprSrdD:sgprSrdD+3], 0, offen, offset:0,  glc slc // store D
s_mul_i32 s32, s[sgprStrideD1J], 232               // scale StrideD *= numRows(29) * bpe
s_add_u32  s[sgprSrdD+0], s[sgprSrdD+0], s32       // incToNextRow: gra SRD += inc(lower)
s_addc_u32  s[sgprSrdD+1], s[sgprSrdD+1], 0        // incToNextRow: gra SRD += inc(upper)
_buffer_store_b128 v[56:59], v38, s[sgprSrdD:sgprSrdD+3], 0, offen, offset:0,  glc slc // store D
s_lshl_b32  s32, s[sgprStrideD1J], 3               // incToNextRow: Scale by BPE
s_add_u32  s[sgprSrdD+0], s[sgprSrdD+0], s32       // incToNextRow: gra SRD += inc(lower)
s_addc_u32  s[sgprSrdD+1], s[sgprSrdD+1], 0        // incToNextRow: gra SRD += inc(upper)
_buffer_store_b128 v[60:63], v38, s[sgprSrdD:sgprSrdD+3], 0, offen, offset:0,  glc slc // store D
s_lshl_b32  s32, s[sgprStrideD1J], 3               // incToNextRow: Scale by BPE
	;; [unrolled: 4-line block ×3, first 2 shown]
s_add_u32  s[sgprSrdD+0], s[sgprSrdD+0], s32       // incToNextRow: gra SRD += inc(lower)
s_addc_u32  s[sgprSrdD+1], s[sgprSrdD+1], 0        // incToNextRow: gra SRD += inc(upper)
_buffer_store_b128 v[68:71], v38, s[sgprSrdD:sgprSrdD+3], 0, offen, offset:0,  glc slc // store D
s_nop 0                                            // 1 wait state required when next inst writes vgprs held by previous dwordx4 store inst
s_branch label_GW_End_23                           // jump to end
label_GW_End_23:

s_endpgm                                           // Kernel End
OptNLL_End_17:


/******************************************/
/* Ord. NoLoadLoop - Begin                                      */
/******************************************/


	;; [unrolled: 1-line block ×4, first 2 shown]
/* iter 0 (last unrolled loop) */

/*  grEndMfmaIndex:0, lwStartMfmaIndex:55, lwEndMfmaIndex:55  */
/*  numMfmaForLR:6, barrierMfmaIndex:57, LocalWritePerMfma:0.070 */
/*  mfmaIndex:0  */
s_waitcnt lgkmcnt(0)                               // lgkmcnt=0 vmcnt=-1wait for prior local read local write old=0, new=0 newLW=0 newLR=0
v_add_f32 v89, -v[vgprValuA_X0_I0+0+0+0], 0        // Ar=-Ar
v_mfma_f32_16x16x4f32 v[0+0:3+0], v[vgprValuB_X0_I0+0+0+0], v[vgprValuA_X0_I0+0+0+0], v[0:3]
 // Cr += Ar*Br
/*  mfmaIndex:1  */
_ds_load_b128 v[vgprValuA_X2_I0+0:vgprValuA_X2_I0+0+3], v[vgprLocalReadAddrA] offset:64 // L -> Reg lro=8 swapByteOffset=0 ti=64 vIdx=0 rIdx=0 oIdx=0 buffer=2 iui=0
v_mfma_f32_16x16x4f32 v[16+0:19+0], v[vgprValuB_X0_I0+0+0+0], v[vgprValuA_X0_I0+0+0+0+1], v[16:19]
 // Ci += Ai*Br
/*  mfmaIndex:2  */
_ds_load_b64 v[vgprValuB_X1_I0+0:vgprValuB_X1_I0+0+1], v[vgprLocalReadAddrB] offset:512 // L -> Reg lro=64 swapByteOffset=0 ti=32 vIdx=0 rIdx=0 oIdx=0 buffer=1 iui=0
v_mfma_f32_16x16x4f32 v[0+0:3+0], v[vgprValuB_X0_I0+0+0+0+1], v[vgprValuA_X0_I0+0+0+0+1], v[0:3]
 // Cr += Ai*Bi
/*  mfmaIndex:3  */
_ds_load_b128 v[vgprValuA_X2_I0+4:vgprValuA_X2_I0+4+3], v[vgprLocalReadAddrA] offset:208 // L -> Reg lro=8 swapByteOffset=0 ti=64 vIdx=0 rIdx=0 oIdx=0 buffer=2 iui=0
v_mfma_f32_16x16x4f32 v[16+0:19+0], v[vgprValuB_X0_I0+0+0+0+1], v89, v[16:19]
 // Ci += -Ar*Bi
/*  mfmaIndex:4  */
_ds_load_b64 v[vgprValuB_X1_I0+2:vgprValuB_X1_I0+2+1], v[vgprLocalReadAddrB] offset:768 // L -> Reg lro=64 swapByteOffset=0 ti=32 vIdx=1 rIdx=0 oIdx=0 buffer=1 iui=0
/* localReadsVacancy: latencyLeft 3 */
_ds_load_b64 v[vgprValuB_X2_I0+0:vgprValuB_X2_I0+0+1], v[vgprLocalReadAddrB] offset:4096 // L -> Reg lro=512 swapByteOffset=0 ti=32 vIdx=0 rIdx=0 oIdx=0 buffer=2 iui=0
v_mfma_f32_16x16x4f32 v[8+0:11+0], v[vgprValuB_X0_I0+2+0+0], v[vgprValuA_X0_I0+0+0+0], v[8:11]
 // Cr += Ar*Br
/*  mfmaIndex:5  */
/* localReadsVacancy: latencyLeft 5 */
_ds_load_b64 v[vgprValuB_X2_I0+2:vgprValuB_X2_I0+2+1], v[vgprLocalReadAddrB] offset:4352 // L -> Reg lro=512 swapByteOffset=0 ti=32 vIdx=1 rIdx=0 oIdx=0 buffer=2 iui=0
_ds_load_b64 v[vgprValuB_X3_I0+0:vgprValuB_X3_I0+0+1], v[vgprLocalReadAddrB] offset:4608 // L -> Reg lro=576 swapByteOffset=0 ti=32 vIdx=0 rIdx=0 oIdx=0 buffer=3 iui=0
v_mfma_f32_16x16x4f32 v[24+0:27+0], v[vgprValuB_X0_I0+2+0+0], v[vgprValuA_X0_I0+0+0+0+1], v[24:27]
 // Ci += Ai*Br
/*  mfmaIndex:6  */
/* localReadsVacancy: latencyLeft 5 */
_ds_load_b64 v[vgprValuB_X3_I0+2:vgprValuB_X3_I0+2+1], v[vgprLocalReadAddrB] offset:4864 // L -> Reg lro=576 swapByteOffset=0 ti=32 vIdx=1 rIdx=0 oIdx=0 buffer=3 iui=0
v_mfma_f32_16x16x4f32 v[8+0:11+0], v[vgprValuB_X0_I0+2+0+0+1], v[vgprValuA_X0_I0+0+0+0+1], v[8:11]
 // Cr += Ai*Bi
/*  mfmaIndex:7  */
/* localReadsVacancy: latencyLeft 5 */
v_mfma_f32_16x16x4f32 v[24+0:27+0], v[vgprValuB_X0_I0+2+0+0+1], v89, v[24:27]
 // Ci += -Ar*Bi
/*  mfmaIndex:8  */
/* localReadsVacancy: latencyLeft 5 */
v_add_f32 v89, -v[vgprValuA_X0_I0+4+0+0], 0        // Ar=-Ar
v_mfma_f32_16x16x4f32 v[4+0:7+0], v[vgprValuB_X0_I0+0+0+0], v[vgprValuA_X0_I0+4+0+0], v[4:7]
 // Cr += Ar*Br
/*  mfmaIndex:9  */
/* localReadsVacancy: latencyLeft 5 */
v_mfma_f32_16x16x4f32 v[20+0:23+0], v[vgprValuB_X0_I0+0+0+0], v[vgprValuA_X0_I0+4+0+0+1], v[20:23]
 // Ci += Ai*Br
/*  mfmaIndex:10  */
/* localReadsVacancy: latencyLeft 5 */
v_mfma_f32_16x16x4f32 v[4+0:7+0], v[vgprValuB_X0_I0+0+0+0+1], v[vgprValuA_X0_I0+4+0+0+1], v[4:7]
 // Cr += Ai*Bi
/*  mfmaIndex:11  */
/* localReadsVacancy: latencyLeft 5 */
v_mfma_f32_16x16x4f32 v[20+0:23+0], v[vgprValuB_X0_I0+0+0+0+1], v89, v[20:23]
 // Ci += -Ar*Bi
/*  mfmaIndex:12  */
/* localReadsVacancy: latencyLeft 5 */
v_mfma_f32_16x16x4f32 v[12+0:15+0], v[vgprValuB_X0_I0+2+0+0], v[vgprValuA_X0_I0+4+0+0], v[12:15]
 // Cr += Ar*Br
/*  mfmaIndex:13  */
/* localReadsVacancy: latencyLeft 5 */
v_mfma_f32_16x16x4f32 v[28+0:31+0], v[vgprValuB_X0_I0+2+0+0], v[vgprValuA_X0_I0+4+0+0+1], v[28:31]
 // Ci += Ai*Br
/*  mfmaIndex:14  */
/* localReadsVacancy: latencyLeft 5 */
v_mfma_f32_16x16x4f32 v[12+0:15+0], v[vgprValuB_X0_I0+2+0+0+1], v[vgprValuA_X0_I0+4+0+0+1], v[12:15]
 // Cr += Ai*Bi
/*  mfmaIndex:15  */
/* localReadsVacancy: latencyLeft 5 */
v_mfma_f32_16x16x4f32 v[28+0:31+0], v[vgprValuB_X0_I0+2+0+0+1], v89, v[28:31]
 // Ci += -Ar*Bi
/* numPrefetchIter=0 */
/* dataAtIterA=-1 numReadsIterA=1 skipReadsIterA=1 readsPerIterA=2 */
/* dataAtIterB=-1 numReadsIterB=1 skipReadsIterB=1 readsPerIterB=2 */


/* iter 1 (last unrolled loop) */

/*  grEndMfmaIndex:0, lwStartMfmaIndex:55, lwEndMfmaIndex:55  */
/*  numMfmaForLR:6, barrierMfmaIndex:57, LocalWritePerMfma:0.070 */
/*  mfmaIndex:16  */
/* localReadsVacancy: latencyLeft 5 */
s_waitcnt lgkmcnt(4)                               // lgkmcnt=0 vmcnt=-1wait for prior local read local write old=2, new=2 newLW=0 newLR=0
v_add_f32 v89, -v[vgprValuA_X0_I0+0+2+0], 0        // Ar=-Ar
v_mfma_f32_16x16x4f32 v[0+0:3+0], v[vgprValuB_X1_I0+0+0+0], v[vgprValuA_X0_I0+0+2+0], v[0:3]
 // Cr += Ar*Br
/*  mfmaIndex:17  */
/* localReadsVacancy: latencyLeft 5 */
v_mfma_f32_16x16x4f32 v[16+0:19+0], v[vgprValuB_X1_I0+0+0+0], v[vgprValuA_X0_I0+0+2+0+1], v[16:19]
 // Ci += Ai*Br
/*  mfmaIndex:18  */
/* localReadsVacancy: latencyLeft 5 */
v_mfma_f32_16x16x4f32 v[0+0:3+0], v[vgprValuB_X1_I0+0+0+0+1], v[vgprValuA_X0_I0+0+2+0+1], v[0:3]
 // Cr += Ai*Bi
/*  mfmaIndex:19  */
/* localReadsVacancy: latencyLeft 5 */
v_mfma_f32_16x16x4f32 v[16+0:19+0], v[vgprValuB_X1_I0+0+0+0+1], v89, v[16:19]
 // Ci += -Ar*Bi
/*  mfmaIndex:20  */
/* localReadsVacancy: latencyLeft 5 */
v_mfma_f32_16x16x4f32 v[8+0:11+0], v[vgprValuB_X1_I0+2+0+0], v[vgprValuA_X0_I0+0+2+0], v[8:11]
 // Cr += Ar*Br
/*  mfmaIndex:21  */
/* localReadsVacancy: latencyLeft 5 */
v_mfma_f32_16x16x4f32 v[24+0:27+0], v[vgprValuB_X1_I0+2+0+0], v[vgprValuA_X0_I0+0+2+0+1], v[24:27]
 // Ci += Ai*Br
/*  mfmaIndex:22  */
/* localReadsVacancy: latencyLeft 5 */
v_mfma_f32_16x16x4f32 v[8+0:11+0], v[vgprValuB_X1_I0+2+0+0+1], v[vgprValuA_X0_I0+0+2+0+1], v[8:11]
 // Cr += Ai*Bi
/*  mfmaIndex:23  */
/* localReadsVacancy: latencyLeft 5 */
v_mfma_f32_16x16x4f32 v[24+0:27+0], v[vgprValuB_X1_I0+2+0+0+1], v89, v[24:27]
 // Ci += -Ar*Bi
/*  mfmaIndex:24  */
/* localReadsVacancy: latencyLeft 5 */
v_add_f32 v89, -v[vgprValuA_X0_I0+4+2+0], 0        // Ar=-Ar
v_mfma_f32_16x16x4f32 v[4+0:7+0], v[vgprValuB_X1_I0+0+0+0], v[vgprValuA_X0_I0+4+2+0], v[4:7]
 // Cr += Ar*Br
/*  mfmaIndex:25  */
/* localReadsVacancy: latencyLeft 5 */
v_mfma_f32_16x16x4f32 v[20+0:23+0], v[vgprValuB_X1_I0+0+0+0], v[vgprValuA_X0_I0+4+2+0+1], v[20:23]
 // Ci += Ai*Br
/*  mfmaIndex:26  */
/* localReadsVacancy: latencyLeft 5 */
v_mfma_f32_16x16x4f32 v[4+0:7+0], v[vgprValuB_X1_I0+0+0+0+1], v[vgprValuA_X0_I0+4+2+0+1], v[4:7]
 // Cr += Ai*Bi
/*  mfmaIndex:27  */
/* localReadsVacancy: latencyLeft 5 */
v_mfma_f32_16x16x4f32 v[20+0:23+0], v[vgprValuB_X1_I0+0+0+0+1], v89, v[20:23]
 // Ci += -Ar*Bi
/*  mfmaIndex:28  */
/* localReadsVacancy: latencyLeft 5 */
v_mfma_f32_16x16x4f32 v[12+0:15+0], v[vgprValuB_X1_I0+2+0+0], v[vgprValuA_X0_I0+4+2+0], v[12:15]
 // Cr += Ar*Br
/*  mfmaIndex:29  */
/* localReadsVacancy: latencyLeft 5 */
v_mfma_f32_16x16x4f32 v[28+0:31+0], v[vgprValuB_X1_I0+2+0+0], v[vgprValuA_X0_I0+4+2+0+1], v[28:31]
 // Ci += Ai*Br
/*  mfmaIndex:30  */
/* localReadsVacancy: latencyLeft 5 */
v_mfma_f32_16x16x4f32 v[12+0:15+0], v[vgprValuB_X1_I0+2+0+0+1], v[vgprValuA_X0_I0+4+2+0+1], v[12:15]
 // Cr += Ai*Bi
/*  mfmaIndex:31  */
/* localReadsVacancy: latencyLeft 5 */
v_mfma_f32_16x16x4f32 v[28+0:31+0], v[vgprValuB_X1_I0+2+0+0+1], v89, v[28:31]
 // Ci += -Ar*Bi
/* numPrefetchIter=0 */
/* dataAtIterA=-1 numReadsIterA=1 skipReadsIterA=0 readsPerIterA=2 */
/* dataAtIterB=0 numReadsIterB=2 skipReadsIterB=1 readsPerIterB=2 */


/* iter 2 (last unrolled loop) */

/*  grEndMfmaIndex:0, lwStartMfmaIndex:55, lwEndMfmaIndex:55  */
/*  numMfmaForLR:6, barrierMfmaIndex:57, LocalWritePerMfma:0.070 */
/*  mfmaIndex:32  */
/* localReadsVacancy: latencyLeft 5 */
s_waitcnt lgkmcnt(0)                               // lgkmcnt=0 vmcnt=-1wait for prior local read local write old=0, new=0 newLW=0 newLR=0
v_add_f32 v89, -v[vgprValuA_X2_I0+0+0+0], 0        // Ar=-Ar
v_mfma_f32_16x16x4f32 v[0+0:3+0], v[vgprValuB_X2_I0+0+0+0], v[vgprValuA_X2_I0+0+0+0], v[0:3]
 // Cr += Ar*Br
/*  mfmaIndex:33  */
/* localReadsVacancy: latencyLeft 5 */
v_mfma_f32_16x16x4f32 v[16+0:19+0], v[vgprValuB_X2_I0+0+0+0], v[vgprValuA_X2_I0+0+0+0+1], v[16:19]
 // Ci += Ai*Br
/*  mfmaIndex:34  */
/* localReadsVacancy: latencyLeft 5 */
v_mfma_f32_16x16x4f32 v[0+0:3+0], v[vgprValuB_X2_I0+0+0+0+1], v[vgprValuA_X2_I0+0+0+0+1], v[0:3]
 // Cr += Ai*Bi
/*  mfmaIndex:35  */
/* localReadsVacancy: latencyLeft 5 */
v_mfma_f32_16x16x4f32 v[16+0:19+0], v[vgprValuB_X2_I0+0+0+0+1], v89, v[16:19]
 // Ci += -Ar*Bi
/*  mfmaIndex:36  */
/* localReadsVacancy: latencyLeft 5 */
v_mfma_f32_16x16x4f32 v[8+0:11+0], v[vgprValuB_X2_I0+2+0+0], v[vgprValuA_X2_I0+0+0+0], v[8:11]
 // Cr += Ar*Br
/*  mfmaIndex:37  */
/* localReadsVacancy: latencyLeft 5 */
v_mfma_f32_16x16x4f32 v[24+0:27+0], v[vgprValuB_X2_I0+2+0+0], v[vgprValuA_X2_I0+0+0+0+1], v[24:27]
 // Ci += Ai*Br
/*  mfmaIndex:38  */
/* localReadsVacancy: latencyLeft 5 */
v_mfma_f32_16x16x4f32 v[8+0:11+0], v[vgprValuB_X2_I0+2+0+0+1], v[vgprValuA_X2_I0+0+0+0+1], v[8:11]
 // Cr += Ai*Bi
/*  mfmaIndex:39  */
/* localReadsVacancy: latencyLeft 5 */
v_mfma_f32_16x16x4f32 v[24+0:27+0], v[vgprValuB_X2_I0+2+0+0+1], v89, v[24:27]
 // Ci += -Ar*Bi
/*  mfmaIndex:40  */
/* localReadsVacancy: latencyLeft 5 */
v_add_f32 v89, -v[vgprValuA_X2_I0+4+0+0], 0        // Ar=-Ar
v_mfma_f32_16x16x4f32 v[4+0:7+0], v[vgprValuB_X2_I0+0+0+0], v[vgprValuA_X2_I0+4+0+0], v[4:7]
 // Cr += Ar*Br
/*  mfmaIndex:41  */
/* localReadsVacancy: latencyLeft 5 */
v_mfma_f32_16x16x4f32 v[20+0:23+0], v[vgprValuB_X2_I0+0+0+0], v[vgprValuA_X2_I0+4+0+0+1], v[20:23]
 // Ci += Ai*Br
/*  mfmaIndex:42  */
/* localReadsVacancy: latencyLeft 5 */
v_mfma_f32_16x16x4f32 v[4+0:7+0], v[vgprValuB_X2_I0+0+0+0+1], v[vgprValuA_X2_I0+4+0+0+1], v[4:7]
 // Cr += Ai*Bi
/*  mfmaIndex:43  */
/* localReadsVacancy: latencyLeft 5 */
v_mfma_f32_16x16x4f32 v[20+0:23+0], v[vgprValuB_X2_I0+0+0+0+1], v89, v[20:23]
 // Ci += -Ar*Bi
/*  mfmaIndex:44  */
/* localReadsVacancy: latencyLeft 5 */
v_mfma_f32_16x16x4f32 v[12+0:15+0], v[vgprValuB_X2_I0+2+0+0], v[vgprValuA_X2_I0+4+0+0], v[12:15]
 // Cr += Ar*Br
/*  mfmaIndex:45  */
/* localReadsVacancy: latencyLeft 5 */
v_mfma_f32_16x16x4f32 v[28+0:31+0], v[vgprValuB_X2_I0+2+0+0], v[vgprValuA_X2_I0+4+0+0+1], v[28:31]
 // Ci += Ai*Br
/*  mfmaIndex:46  */
/* localReadsVacancy: latencyLeft 5 */
v_mfma_f32_16x16x4f32 v[12+0:15+0], v[vgprValuB_X2_I0+2+0+0+1], v[vgprValuA_X2_I0+4+0+0+1], v[12:15]
 // Cr += Ai*Bi
/*  mfmaIndex:47  */
/* localReadsVacancy: latencyLeft 5 */
v_mfma_f32_16x16x4f32 v[28+0:31+0], v[vgprValuB_X2_I0+2+0+0+1], v89, v[28:31]
 // Ci += -Ar*Bi
/* numPrefetchIter=0 */
/* dataAtIterA=0 numReadsIterA=1 skipReadsIterA=0 readsPerIterA=2 */
/* dataAtIterB=1 numReadsIterB=3 skipReadsIterB=1 readsPerIterB=2 */


/* iter 3 (last unrolled loop) */

/*  grEndMfmaIndex:0, lwStartMfmaIndex:55, lwEndMfmaIndex:55  */
/*  numMfmaForLR:6, barrierMfmaIndex:57, LocalWritePerMfma:0.070 */
/*  mfmaIndex:48  */
s_waitcnt lgkmcnt(0)                               // lgkmcnt=0 vmcnt=-1wait for prior local read local write old=0, new=0 newLW=0 newLR=0
v_add_f32 v89, -v[vgprValuA_X2_I0+0+2+0], 0        // Ar=-Ar
v_mfma_f32_16x16x4f32 v[0+0:3+0], v[vgprValuB_X3_I0+0+0+0], v[vgprValuA_X2_I0+0+2+0], v[0:3]
 // Cr += Ar*Br
/*  mfmaIndex:49  */
v_mfma_f32_16x16x4f32 v[16+0:19+0], v[vgprValuB_X3_I0+0+0+0], v[vgprValuA_X2_I0+0+2+0+1], v[16:19]
 // Ci += Ai*Br
/*  mfmaIndex:50  */
v_mfma_f32_16x16x4f32 v[0+0:3+0], v[vgprValuB_X3_I0+0+0+0+1], v[vgprValuA_X2_I0+0+2+0+1], v[0:3]
 // Cr += Ai*Bi
/*  mfmaIndex:51  */
v_mfma_f32_16x16x4f32 v[16+0:19+0], v[vgprValuB_X3_I0+0+0+0+1], v89, v[16:19]
 // Ci += -Ar*Bi
/*  mfmaIndex:52  */
v_mfma_f32_16x16x4f32 v[8+0:11+0], v[vgprValuB_X3_I0+2+0+0], v[vgprValuA_X2_I0+0+2+0], v[8:11]
 // Cr += Ar*Br
/*  mfmaIndex:53  */
v_mfma_f32_16x16x4f32 v[24+0:27+0], v[vgprValuB_X3_I0+2+0+0], v[vgprValuA_X2_I0+0+2+0+1], v[24:27]
 // Ci += Ai*Br
/*  mfmaIndex:54  */
/* 1 LDS buffer: read-sync-write */
s_waitcnt lgkmcnt(0)                               // 
s_barrier                                          // 
v_mfma_f32_16x16x4f32 v[8+0:11+0], v[vgprValuB_X3_I0+2+0+0+1], v[vgprValuA_X2_I0+0+2+0+1], v[8:11]
 // Cr += Ai*Bi
/*  mfmaIndex:55  */
s_setprio 3                                        // store optimization
v_mfma_f32_16x16x4f32 v[24+0:27+0], v[vgprValuB_X3_I0+2+0+0+1], v89, v[24:27]
 // Ci += -Ar*Bi
/*  mfmaIndex:56  */
v_add_f32 v89, -v[vgprValuA_X2_I0+4+2+0], 0        // Ar=-Ar
v_mfma_f32_16x16x4f32 v[4+0:7+0], v[vgprValuB_X3_I0+0+0+0], v[vgprValuA_X2_I0+4+2+0], v[4:7]
 // Cr += Ar*Br
s_setprio 0                                        // store optimization
/*  mfmaIndex:57  */
v_mfma_f32_16x16x4f32 v[20+0:23+0], v[vgprValuB_X3_I0+0+0+0], v[vgprValuA_X2_I0+4+2+0+1], v[20:23]
 // Ci += Ai*Br
/*  mfmaIndex:58  */
s_setprio 3                                        // store optimization
v_mfma_f32_16x16x4f32 v[4+0:7+0], v[vgprValuB_X3_I0+0+0+0+1], v[vgprValuA_X2_I0+4+2+0+1], v[4:7]
 // Cr += Ai*Bi
/*  mfmaIndex:59  */
v_mfma_f32_16x16x4f32 v[20+0:23+0], v[vgprValuB_X3_I0+0+0+0+1], v89, v[20:23]
 // Ci += -Ar*Bi
/*  mfmaIndex:60  */
v_mfma_f32_16x16x4f32 v[12+0:15+0], v[vgprValuB_X3_I0+2+0+0], v[vgprValuA_X2_I0+4+2+0], v[12:15]
 // Cr += Ar*Br
/*  mfmaIndex:61  */
v_mfma_f32_16x16x4f32 v[28+0:31+0], v[vgprValuB_X3_I0+2+0+0], v[vgprValuA_X2_I0+4+2+0+1], v[28:31]
 // Ci += Ai*Br
/*  mfmaIndex:62  */
v_mfma_f32_16x16x4f32 v[12+0:15+0], v[vgprValuB_X3_I0+2+0+0+1], v[vgprValuA_X2_I0+4+2+0+1], v[12:15]
 // Cr += Ai*Bi
/*  mfmaIndex:63  */
v_mfma_f32_16x16x4f32 v[28+0:31+0], v[vgprValuB_X3_I0+2+0+0+1], v89, v[28:31]
 // Ci += -Ar*Bi
/* numPrefetchIter=0 */
/* dataAtIterA=0 numReadsIterA=1 skipReadsIterA=0 readsPerIterA=2 */
/* dataAtIterB=2 numReadsIterB=3 skipReadsIterB=0 readsPerIterB=2 */

PrefetchGlobalLastIterEnd_5:


/******************************************/
/* Tail Loop                              */
/******************************************/


/* local write reset offsets a */


	;; [unrolled: 1-line block ×4, first 2 shown]
/* local write reset offsets b */


	;; [unrolled: 1-line block ×4, first 2 shown]
//numIterL = (((sizeL % LOCAL_DEPTHU) + LOCAL_SPLITU - 1) / LOCAL_SPLITU)
s_and_b32 s[sgprLoopCounterL], 15, s[sgprSizesSum+0] // s[sgprLoopCounterL] = s[sgprSizesSum+0] % 16
s_cmp_eq_u32 s[sgprLoopCounterL], 0x0              // numIterL == 0
s_cbranch_scc1 SkipTailLoopL_8                     // skip to end of tail loop b/c numIter==0
s_mov_b32 s[sgprOrigLoopCounter], 0                // repurpose to count each localRead increment


/* Update M0 for DTLDS */


	;; [unrolled: 1-line block ×3, first 2 shown]
/* global read a */

/* g2l=0, load component 0 */
_buffer_load_b64 v[vgprG2LA+0+0:vgprG2LA+0+0+1], v[vgprGlobalReadOffsetA+0], s[sgprSrdA:sgprSrdA+3], 0, offen offset:0 // load one buffer value
/* g2l=0, load component 1 */
_buffer_load_b64 v[vgprG2LA+0+2:vgprG2LA+0+2+1], v[vgprGlobalReadOffsetA+0], s[sgprSrdA:sgprSrdA+3], 0, offen offset:8 // load one buffer value
	;; [unrolled: 2-line block ×4, first 2 shown]


/* Update M0 for DTLDS */


	;; [unrolled: 1-line block ×3, first 2 shown]
/* global read b */

/* g2l=0, load component 0 */
_buffer_load_b64 v[vgprG2LB+0+0:vgprG2LB+0+0+1], v[vgprGlobalReadOffsetB+0], s[sgprSrdB:sgprSrdB+3], 0, offen offset:0 // load one buffer value
/* g2l=0, load component 1 */
_buffer_load_b64 v[vgprG2LB+0+2:vgprG2LB+0+2+1], v[vgprGlobalReadOffsetB+0], s[sgprSrdB:sgprSrdB+3], 0, offen offset:8 // load one buffer value
	;; [unrolled: 2-line block ×4, first 2 shown]

s_waitcnt vmcnt(0)                                 // lgkmcnt=-1 vmcnt=02wait for global read

// Skip force waitcnt0
s_barrier //


/* Done global A/B reads */


	;; [unrolled: 1-line block ×4, first 2 shown]
/* local write a */

_ds_store_b128 v[vgprLocalWriteAddrA], v[vgprG2LA+0:vgprG2LA+0+3] offset:0 // lwoA_0_0_0_0 = (0*LSCA)*(MT0I+PAD) + (0*LSPA) = 0
_ds_store_b128 v[vgprLocalWriteAddrA], v[vgprG2LA+4:vgprG2LA+4+3] offset:4608 // lwoA_0_0_1_0 = (0*LSCA)*(MT0I+PAD) + (1*LSPA) = 4608


/* local write b */

_ds_store_b128 v[vgprLocalWriteAddrB], v[vgprG2LB+0:vgprG2LB+0+3] offset:0 // lwoB_0_0_0_0 = (0*LSCB) + (0*LSPB)(*MT1J+PAD) = 0
_ds_store_b128 v[vgprLocalWriteAddrB], v[vgprG2LB+4:vgprG2LB+4+3] offset:4096 // lwoB_0_0_1_0 = (0*LSCB) + (1*LSPB)(*MT1J+PAD) = 4096


/* Recalc local read offsets */

/*lr0I*/
v_and_b32 v90, 63, v[vgprSerial]                   // 0. thread id in wave: wtid = tid % wavelength(64)
v_and_b32 v89, 15, v90                             // 1. N offset: nIdx = wtid % MI_N(16)
v_lshlrev_b32 v89, 0x4, v89                        // 1. N offset: nOffset = nIdx * nStride(16)
                                                   // 2. block offset: bnIdx = bnIdx % num1DBlocks(1) is 0. do nothing
v_lshlrev_b32 v89, 0x1, v89                        // 4. apply VectorWidth: bnOffset = bnOffset * vw(2)
v_lshrrev_b32 v90, 4, v90                          // 5. K offset: kIdx = wtid / (MIN(16) * MIBB(1))
                                                   // 5. K offset: lrKOffset = kIdx * mStride(1) (multiplier is 1, do nothing)
_v_add_u32 v89, v90, v89                           // 6. offset in wave: lrOffset = bnOffset + lrKOffset
v_lshrrev_b32 v91, 6, v[vgprSerial]                // 7. wave offset in N dimen: wtid = tid / dividedForWaveId(64)
v_and_b32 v90, 1, v91                              // 7. wave offset in M dimen: wtid0 = wtid / num1DWaves(2)
v_lshlrev_b32 v90, 0x9, v90                        // 7. wave offset in M dimen: wOffset = wtid0 * W0Stride(512)
_v_add_u32 v89, v90, v89                           // 8. final local read offset: flrOffset = lrOffset + WOffset
/*lr1J*/
v_and_b32 v91, 63, v[vgprSerial]                   // 0. thread id in wave: wtid = tid % wavelength(64)
v_and_b32 v90, 15, v91                             // 1. N offset: nIdx = wtid % MI_N(16)
                                                   // 1. N offset: nOffset = nIdx * nStride(1) (multiplier is 1, do nothing)
                                                   // 2. block offset: bnIdx = bnIdx % num1DBlocks(1) is 0. do nothing
                                                   // 4. apply VectorWidth: bnOffset = bnOffset * vw(1) (multiplier is 1, do nothing)
v_lshrrev_b32 v91, 4, v91                          // 5. K offset: kIdx = wtid / (MIN(16) * MIBB(1))
v_lshlrev_b32 v91, 0x6, v91                        // 5. K offset: lrKOffset = kIdx * mStride(64)
_v_add_u32 v90, v91, v90                           // 6. offset in wave: lrOffset = bnOffset + lrKOffset
v_lshrrev_b32 v92, 7, v[vgprSerial]                // 7. wave offset in N dimen: wtid = tid / dividedForWaveId(128)
v_and_b32 v91, 1, v92                              // 7. wave offset in M dimen: wtid0 = wtid / num1DWaves(2)
v_lshlrev_b32 v91, 0x4, v91                        // 7. wave offset in M dimen: wOffset = wtid0 * W0Stride(16)
_v_add_u32 v90, v91, v90                           // 8. final local read offset: flrOffset = lrOffset + WOffset
v_lshlrev_b32 v[vgprLocalReadAddrA], 0x3, v89      // Final Offset: offset = (lro0)*bpe
v_lshrrev_b32 v89, 7, v[vgprLocalReadAddrA]        // Final Offset: padding 2 per block 128
v_lshlrev_b32 v89, 0x4, v89                        // Final Offset: padding 2 per block 128
_v_add_u32 v[vgprLocalReadAddrA], v89, v[vgprLocalReadAddrA] // Final Offset: add padding 2 per block 128
/* N/A */
v_lshlrev_b32 v[vgprLocalReadAddrB], 0x3, v90      // Final Offset: offset = (lro1)*bpe
_v_add_co_u32 v[vgprLocalReadAddrB+0], vcc, 0x2400, v[vgprLocalReadAddrB+0] //  += LdsOffsetB (lower)

s_waitcnt lgkmcnt(0)                               // lgkmcnt=0 vmcnt=-15wait for local write

// Skip force waitcnt0
s_barrier //


/* local read reset offsets a */


	;; [unrolled: 1-line block ×3, first 2 shown]
/* local read reset offsets b */



/* local read init pointers a */


/* localReadInitPointers */


/* local read init pointers b */


/* localReadInitPointers */


/* tail loop: macs */

TailLoopBeginL_6:


/* tail loop unroll iter 0 */


/* local read a */

_ds_load_b64 v[vgprValuA_X0_I0+0:vgprValuA_X0_I0+0+1], v[vgprLocalReadAddrA] offset:0 // L -> Reg lro=0 swapByteOffset=0 ti=64 vIdx=0 rIdx=0 oIdx=0 buffer=0 iui=0
_ds_load_b64 v[vgprValuA_X0_I0+2:vgprValuA_X0_I0+2+1], v[vgprLocalReadAddrA] offset:144 // L -> Reg lro=0 swapByteOffset=0 ti=64 vIdx=0 rIdx=0 oIdx=0 buffer=0 iui=0


/* local read b */

_ds_load_b64 v[vgprValuB_X0_I0+0:vgprValuB_X0_I0+0+1], v[vgprLocalReadAddrB] offset:0 // L -> Reg lro=0 swapByteOffset=0 ti=32 vIdx=0 rIdx=0 oIdx=0 buffer=0 iui=0
_ds_load_b64 v[vgprValuB_X0_I0+2:vgprValuB_X0_I0+2+1], v[vgprLocalReadAddrB] offset:256 // L -> Reg lro=0 swapByteOffset=0 ti=32 vIdx=1 rIdx=0 oIdx=0 buffer=0 iui=0


/* local read inc a */

s_mov_b32 s31, 0x20                                // inc
_v_add_co_u32 v[vgprLocalReadAddrA], vcc, s31, v[vgprLocalReadAddrA] // lrA += 32 (LSU*bpe)


/* local read inc b */

s_mov_b32 s31, 0x800                               // inc
_v_add_co_u32 v[vgprLocalReadAddrB], vcc, s31, v[vgprLocalReadAddrB] // lrB += 2048 (LSU*(MT+PAD)*bpe)

s_waitcnt lgkmcnt(0)                               // lgkmcnt=0 vmcnt=-14wait for local read



/* tail loop mfma iter 0: numReadsIterCoalescedA=1, numReadsIterCoalescedB=1 */
v_and_b32 v89, 63, v[vgprSerial]                   // v89 = v[vgprSerial] % 64
v_lshrrev_b32 v89, 4, v89                          // v89 = v89 / 16
                                                   // v89 = v89 * 1 (multiplier is 1, do nothing)
v_cmp_ge_i32 s[32:33], v89, s[sgprLoopCounterL]    // check K index >= Size L
v_cndmask_b32 v[vgprValuA_X0_I0+0+0+0+0], v[vgprValuA_X0_I0+0+0+0+0], 0x0, s[32:33] // set 0 if K_idx >= sizeL
v_cndmask_b32 v[vgprValuA_X0_I0+2+0+0+0], v[vgprValuA_X0_I0+2+0+0+0], 0x0, s[32:33] // set 0 if K_idx >= sizeL
	;; [unrolled: 1-line block ×4, first 2 shown]
s_nop 1
v_add_f32 v89, -v[vgprValuA_X0_I0+0+0+0], 0        // Ar=-Ar
v_mfma_f32_16x16x4f32 v[0+0:3+0], v[vgprValuB_X0_I0+0+0+0], v[vgprValuA_X0_I0+0+0+0], v[0:3]
 // Cr += Ar*Br
v_mfma_f32_16x16x4f32 v[16+0:19+0], v[vgprValuB_X0_I0+0+0+0], v[vgprValuA_X0_I0+0+0+0+1], v[16:19]
 // Ci += Ai*Br
v_mfma_f32_16x16x4f32 v[0+0:3+0], v[vgprValuB_X0_I0+0+0+0+1], v[vgprValuA_X0_I0+0+0+0+1], v[0:3]
 // Cr += Ai*Bi
v_mfma_f32_16x16x4f32 v[16+0:19+0], v[vgprValuB_X0_I0+0+0+0+1], v89, v[16:19]
 // Ci += -Ar*Bi
v_mfma_f32_16x16x4f32 v[8+0:11+0], v[vgprValuB_X0_I0+2+0+0], v[vgprValuA_X0_I0+0+0+0], v[8:11]
 // Cr += Ar*Br
v_mfma_f32_16x16x4f32 v[24+0:27+0], v[vgprValuB_X0_I0+2+0+0], v[vgprValuA_X0_I0+0+0+0+1], v[24:27]
 // Ci += Ai*Br
v_mfma_f32_16x16x4f32 v[8+0:11+0], v[vgprValuB_X0_I0+2+0+0+1], v[vgprValuA_X0_I0+0+0+0+1], v[8:11]
 // Cr += Ai*Bi
v_mfma_f32_16x16x4f32 v[24+0:27+0], v[vgprValuB_X0_I0+2+0+0+1], v89, v[24:27]
 // Ci += -Ar*Bi
v_add_f32 v89, -v[vgprValuA_X0_I0+2+0+0], 0        // Ar=-Ar
v_mfma_f32_16x16x4f32 v[4+0:7+0], v[vgprValuB_X0_I0+0+0+0], v[vgprValuA_X0_I0+2+0+0], v[4:7]
 // Cr += Ar*Br
v_mfma_f32_16x16x4f32 v[20+0:23+0], v[vgprValuB_X0_I0+0+0+0], v[vgprValuA_X0_I0+2+0+0+1], v[20:23]
 // Ci += Ai*Br
v_mfma_f32_16x16x4f32 v[4+0:7+0], v[vgprValuB_X0_I0+0+0+0+1], v[vgprValuA_X0_I0+2+0+0+1], v[4:7]
 // Cr += Ai*Bi
v_mfma_f32_16x16x4f32 v[20+0:23+0], v[vgprValuB_X0_I0+0+0+0+1], v89, v[20:23]
 // Ci += -Ar*Bi
v_mfma_f32_16x16x4f32 v[12+0:15+0], v[vgprValuB_X0_I0+2+0+0], v[vgprValuA_X0_I0+2+0+0], v[12:15]
 // Cr += Ar*Br
v_mfma_f32_16x16x4f32 v[28+0:31+0], v[vgprValuB_X0_I0+2+0+0], v[vgprValuA_X0_I0+2+0+0+1], v[28:31]
 // Ci += Ai*Br
v_mfma_f32_16x16x4f32 v[12+0:15+0], v[vgprValuB_X0_I0+2+0+0+1], v[vgprValuA_X0_I0+2+0+0+1], v[12:15]
 // Cr += Ai*Bi
v_mfma_f32_16x16x4f32 v[28+0:31+0], v[vgprValuB_X0_I0+2+0+0+1], v89, v[28:31]
 // Ci += -Ar*Bi


/* closeLoop loopL finalLoop=0 tailLoop=1 */
s_sub_i32 s[sgprLoopCounterL], s[sgprLoopCounterL], 0x4 // dec counterL (tailLoop)
s_add_u32 s[sgprOrigLoopCounter], s[sgprOrigLoopCounter], 0x4 // inc counterL
s_cmp_le_i32 s[sgprLoopCounterL], 0x0              // counterL<=0
s_cbranch_scc1 TailLoopEndL_7                      // exit LoopL


/* tail loop unroll iter 1 */


/* local read a */

_ds_load_b64 v[vgprValuA_X1_I0+0:vgprValuA_X1_I0+0+1], v[vgprLocalReadAddrA] offset:0 // L -> Reg lro=0 swapByteOffset=0 ti=64 vIdx=0 rIdx=0 oIdx=0 buffer=1 iui=0
_ds_load_b64 v[vgprValuA_X1_I0+2:vgprValuA_X1_I0+2+1], v[vgprLocalReadAddrA] offset:144 // L -> Reg lro=0 swapByteOffset=0 ti=64 vIdx=0 rIdx=0 oIdx=0 buffer=1 iui=0


/* local read b */

_ds_load_b64 v[vgprValuB_X1_I0+0:vgprValuB_X1_I0+0+1], v[vgprLocalReadAddrB] offset:0 // L -> Reg lro=0 swapByteOffset=0 ti=32 vIdx=0 rIdx=0 oIdx=0 buffer=1 iui=0
_ds_load_b64 v[vgprValuB_X1_I0+2:vgprValuB_X1_I0+2+1], v[vgprLocalReadAddrB] offset:256 // L -> Reg lro=0 swapByteOffset=0 ti=32 vIdx=1 rIdx=0 oIdx=0 buffer=1 iui=0


/* local read inc a */

s_mov_b32 s31, 0x20                                // inc
_v_add_co_u32 v[vgprLocalReadAddrA], vcc, s31, v[vgprLocalReadAddrA] // lrA += 32 (LSU*bpe)


/* local read inc b */

s_mov_b32 s31, 0x800                               // inc
_v_add_co_u32 v[vgprLocalReadAddrB], vcc, s31, v[vgprLocalReadAddrB] // lrB += 2048 (LSU*(MT+PAD)*bpe)

s_waitcnt lgkmcnt(0)                               // lgkmcnt=0 vmcnt=-14wait for local read


	;; [unrolled: 1-line block ×3, first 2 shown]
/* tail loop mfma iter 1: numReadsIterCoalescedA=1, numReadsIterCoalescedB=1 */
v_and_b32 v89, 63, v[vgprSerial]                   // v89 = v[vgprSerial] % 64
v_lshrrev_b32 v89, 4, v89                          // v89 = v89 / 16
                                                   // v89 = v89 * 1 (multiplier is 1, do nothing)
v_cmp_ge_i32 s[32:33], v89, s[sgprLoopCounterL]    // check K index >= Size L
v_cndmask_b32 v[vgprValuA_X1_I0+0+0+0+0], v[vgprValuA_X1_I0+0+0+0+0], 0x0, s[32:33] // set 0 if K_idx >= sizeL
v_cndmask_b32 v[vgprValuA_X1_I0+2+0+0+0], v[vgprValuA_X1_I0+2+0+0+0], 0x0, s[32:33] // set 0 if K_idx >= sizeL
	;; [unrolled: 1-line block ×4, first 2 shown]
s_nop 1
v_add_f32 v89, -v[vgprValuA_X1_I0+0+0+0], 0        // Ar=-Ar
v_mfma_f32_16x16x4f32 v[0+0:3+0], v[vgprValuB_X1_I0+0+0+0], v[vgprValuA_X1_I0+0+0+0], v[0:3]
 // Cr += Ar*Br
v_mfma_f32_16x16x4f32 v[16+0:19+0], v[vgprValuB_X1_I0+0+0+0], v[vgprValuA_X1_I0+0+0+0+1], v[16:19]
 // Ci += Ai*Br
v_mfma_f32_16x16x4f32 v[0+0:3+0], v[vgprValuB_X1_I0+0+0+0+1], v[vgprValuA_X1_I0+0+0+0+1], v[0:3]
 // Cr += Ai*Bi
v_mfma_f32_16x16x4f32 v[16+0:19+0], v[vgprValuB_X1_I0+0+0+0+1], v89, v[16:19]
 // Ci += -Ar*Bi
v_mfma_f32_16x16x4f32 v[8+0:11+0], v[vgprValuB_X1_I0+2+0+0], v[vgprValuA_X1_I0+0+0+0], v[8:11]
 // Cr += Ar*Br
v_mfma_f32_16x16x4f32 v[24+0:27+0], v[vgprValuB_X1_I0+2+0+0], v[vgprValuA_X1_I0+0+0+0+1], v[24:27]
 // Ci += Ai*Br
v_mfma_f32_16x16x4f32 v[8+0:11+0], v[vgprValuB_X1_I0+2+0+0+1], v[vgprValuA_X1_I0+0+0+0+1], v[8:11]
 // Cr += Ai*Bi
v_mfma_f32_16x16x4f32 v[24+0:27+0], v[vgprValuB_X1_I0+2+0+0+1], v89, v[24:27]
 // Ci += -Ar*Bi
v_add_f32 v89, -v[vgprValuA_X1_I0+2+0+0], 0        // Ar=-Ar
v_mfma_f32_16x16x4f32 v[4+0:7+0], v[vgprValuB_X1_I0+0+0+0], v[vgprValuA_X1_I0+2+0+0], v[4:7]
 // Cr += Ar*Br
v_mfma_f32_16x16x4f32 v[20+0:23+0], v[vgprValuB_X1_I0+0+0+0], v[vgprValuA_X1_I0+2+0+0+1], v[20:23]
 // Ci += Ai*Br
v_mfma_f32_16x16x4f32 v[4+0:7+0], v[vgprValuB_X1_I0+0+0+0+1], v[vgprValuA_X1_I0+2+0+0+1], v[4:7]
 // Cr += Ai*Bi
v_mfma_f32_16x16x4f32 v[20+0:23+0], v[vgprValuB_X1_I0+0+0+0+1], v89, v[20:23]
 // Ci += -Ar*Bi
v_mfma_f32_16x16x4f32 v[12+0:15+0], v[vgprValuB_X1_I0+2+0+0], v[vgprValuA_X1_I0+2+0+0], v[12:15]
 // Cr += Ar*Br
v_mfma_f32_16x16x4f32 v[28+0:31+0], v[vgprValuB_X1_I0+2+0+0], v[vgprValuA_X1_I0+2+0+0+1], v[28:31]
 // Ci += Ai*Br
v_mfma_f32_16x16x4f32 v[12+0:15+0], v[vgprValuB_X1_I0+2+0+0+1], v[vgprValuA_X1_I0+2+0+0+1], v[12:15]
 // Cr += Ai*Bi
v_mfma_f32_16x16x4f32 v[28+0:31+0], v[vgprValuB_X1_I0+2+0+0+1], v89, v[28:31]
 // Ci += -Ar*Bi


/* closeLoop loopL finalLoop=0 tailLoop=1 */
s_sub_i32 s[sgprLoopCounterL], s[sgprLoopCounterL], 0x4 // dec counterL (tailLoop)
s_add_u32 s[sgprOrigLoopCounter], s[sgprOrigLoopCounter], 0x4 // inc counterL
s_cmp_le_i32 s[sgprLoopCounterL], 0x0              // counterL<=0
s_cbranch_scc1 TailLoopEndL_7                      // exit LoopL


/* tail loop unroll iter 2 */


/* local read a */

_ds_load_b64 v[vgprValuA_X2_I0+0:vgprValuA_X2_I0+0+1], v[vgprLocalReadAddrA] offset:0 // L -> Reg lro=0 swapByteOffset=0 ti=64 vIdx=0 rIdx=0 oIdx=0 buffer=2 iui=0
_ds_load_b64 v[vgprValuA_X2_I0+2:vgprValuA_X2_I0+2+1], v[vgprLocalReadAddrA] offset:144 // L -> Reg lro=0 swapByteOffset=0 ti=64 vIdx=0 rIdx=0 oIdx=0 buffer=2 iui=0


/* local read b */

_ds_load_b64 v[vgprValuB_X2_I0+0:vgprValuB_X2_I0+0+1], v[vgprLocalReadAddrB] offset:0 // L -> Reg lro=0 swapByteOffset=0 ti=32 vIdx=0 rIdx=0 oIdx=0 buffer=2 iui=0
_ds_load_b64 v[vgprValuB_X2_I0+2:vgprValuB_X2_I0+2+1], v[vgprLocalReadAddrB] offset:256 // L -> Reg lro=0 swapByteOffset=0 ti=32 vIdx=1 rIdx=0 oIdx=0 buffer=2 iui=0


/* local read inc a */

s_mov_b32 s31, 0x20                                // inc
_v_add_co_u32 v[vgprLocalReadAddrA], vcc, s31, v[vgprLocalReadAddrA] // lrA += 32 (LSU*bpe)


/* local read inc b */

s_mov_b32 s31, 0x800                               // inc
_v_add_co_u32 v[vgprLocalReadAddrB], vcc, s31, v[vgprLocalReadAddrB] // lrB += 2048 (LSU*(MT+PAD)*bpe)

s_waitcnt lgkmcnt(0)                               // lgkmcnt=0 vmcnt=-14wait for local read


	;; [unrolled: 1-line block ×3, first 2 shown]
/* tail loop mfma iter 2: numReadsIterCoalescedA=1, numReadsIterCoalescedB=1 */
v_and_b32 v89, 63, v[vgprSerial]                   // v89 = v[vgprSerial] % 64
v_lshrrev_b32 v89, 4, v89                          // v89 = v89 / 16
                                                   // v89 = v89 * 1 (multiplier is 1, do nothing)
v_cmp_ge_i32 s[32:33], v89, s[sgprLoopCounterL]    // check K index >= Size L
v_cndmask_b32 v[vgprValuA_X2_I0+0+0+0+0], v[vgprValuA_X2_I0+0+0+0+0], 0x0, s[32:33] // set 0 if K_idx >= sizeL
v_cndmask_b32 v[vgprValuA_X2_I0+2+0+0+0], v[vgprValuA_X2_I0+2+0+0+0], 0x0, s[32:33] // set 0 if K_idx >= sizeL
	;; [unrolled: 1-line block ×4, first 2 shown]
s_nop 1
v_add_f32 v89, -v[vgprValuA_X2_I0+0+0+0], 0        // Ar=-Ar
v_mfma_f32_16x16x4f32 v[0+0:3+0], v[vgprValuB_X2_I0+0+0+0], v[vgprValuA_X2_I0+0+0+0], v[0:3]
 // Cr += Ar*Br
v_mfma_f32_16x16x4f32 v[16+0:19+0], v[vgprValuB_X2_I0+0+0+0], v[vgprValuA_X2_I0+0+0+0+1], v[16:19]
 // Ci += Ai*Br
v_mfma_f32_16x16x4f32 v[0+0:3+0], v[vgprValuB_X2_I0+0+0+0+1], v[vgprValuA_X2_I0+0+0+0+1], v[0:3]
 // Cr += Ai*Bi
v_mfma_f32_16x16x4f32 v[16+0:19+0], v[vgprValuB_X2_I0+0+0+0+1], v89, v[16:19]
 // Ci += -Ar*Bi
v_mfma_f32_16x16x4f32 v[8+0:11+0], v[vgprValuB_X2_I0+2+0+0], v[vgprValuA_X2_I0+0+0+0], v[8:11]
 // Cr += Ar*Br
v_mfma_f32_16x16x4f32 v[24+0:27+0], v[vgprValuB_X2_I0+2+0+0], v[vgprValuA_X2_I0+0+0+0+1], v[24:27]
 // Ci += Ai*Br
v_mfma_f32_16x16x4f32 v[8+0:11+0], v[vgprValuB_X2_I0+2+0+0+1], v[vgprValuA_X2_I0+0+0+0+1], v[8:11]
 // Cr += Ai*Bi
v_mfma_f32_16x16x4f32 v[24+0:27+0], v[vgprValuB_X2_I0+2+0+0+1], v89, v[24:27]
 // Ci += -Ar*Bi
v_add_f32 v89, -v[vgprValuA_X2_I0+2+0+0], 0        // Ar=-Ar
v_mfma_f32_16x16x4f32 v[4+0:7+0], v[vgprValuB_X2_I0+0+0+0], v[vgprValuA_X2_I0+2+0+0], v[4:7]
 // Cr += Ar*Br
v_mfma_f32_16x16x4f32 v[20+0:23+0], v[vgprValuB_X2_I0+0+0+0], v[vgprValuA_X2_I0+2+0+0+1], v[20:23]
 // Ci += Ai*Br
v_mfma_f32_16x16x4f32 v[4+0:7+0], v[vgprValuB_X2_I0+0+0+0+1], v[vgprValuA_X2_I0+2+0+0+1], v[4:7]
 // Cr += Ai*Bi
v_mfma_f32_16x16x4f32 v[20+0:23+0], v[vgprValuB_X2_I0+0+0+0+1], v89, v[20:23]
 // Ci += -Ar*Bi
v_mfma_f32_16x16x4f32 v[12+0:15+0], v[vgprValuB_X2_I0+2+0+0], v[vgprValuA_X2_I0+2+0+0], v[12:15]
 // Cr += Ar*Br
v_mfma_f32_16x16x4f32 v[28+0:31+0], v[vgprValuB_X2_I0+2+0+0], v[vgprValuA_X2_I0+2+0+0+1], v[28:31]
 // Ci += Ai*Br
v_mfma_f32_16x16x4f32 v[12+0:15+0], v[vgprValuB_X2_I0+2+0+0+1], v[vgprValuA_X2_I0+2+0+0+1], v[12:15]
 // Cr += Ai*Bi
v_mfma_f32_16x16x4f32 v[28+0:31+0], v[vgprValuB_X2_I0+2+0+0+1], v89, v[28:31]
 // Ci += -Ar*Bi


/* closeLoop loopL finalLoop=0 tailLoop=1 */
s_sub_i32 s[sgprLoopCounterL], s[sgprLoopCounterL], 0x4 // dec counterL (tailLoop)
s_add_u32 s[sgprOrigLoopCounter], s[sgprOrigLoopCounter], 0x4 // inc counterL
s_cmp_le_i32 s[sgprLoopCounterL], 0x0              // counterL<=0
s_cbranch_scc1 TailLoopEndL_7                      // exit LoopL


/* tail loop unroll iter 3 */


/* local read a */

_ds_load_b64 v[vgprValuA_X3_I0+0:vgprValuA_X3_I0+0+1], v[vgprLocalReadAddrA] offset:0 // L -> Reg lro=0 swapByteOffset=0 ti=64 vIdx=0 rIdx=0 oIdx=0 buffer=3 iui=0
_ds_load_b64 v[vgprValuA_X3_I0+2:vgprValuA_X3_I0+2+1], v[vgprLocalReadAddrA] offset:144 // L -> Reg lro=0 swapByteOffset=0 ti=64 vIdx=0 rIdx=0 oIdx=0 buffer=3 iui=0


/* local read b */

_ds_load_b64 v[vgprValuB_X3_I0+0:vgprValuB_X3_I0+0+1], v[vgprLocalReadAddrB] offset:0 // L -> Reg lro=0 swapByteOffset=0 ti=32 vIdx=0 rIdx=0 oIdx=0 buffer=3 iui=0
_ds_load_b64 v[vgprValuB_X3_I0+2:vgprValuB_X3_I0+2+1], v[vgprLocalReadAddrB] offset:256 // L -> Reg lro=0 swapByteOffset=0 ti=32 vIdx=1 rIdx=0 oIdx=0 buffer=3 iui=0


/* local read inc a */

s_mov_b32 s31, 0x30                                // inc
_v_add_co_u32 v[vgprLocalReadAddrA], vcc, s31, v[vgprLocalReadAddrA] // lrA += 48 (LSU*bpe)


/* local read inc b */

s_mov_b32 s31, 0x800                               // inc
_v_add_co_u32 v[vgprLocalReadAddrB], vcc, s31, v[vgprLocalReadAddrB] // lrB += 2048 (LSU*(MT+PAD)*bpe)

s_waitcnt lgkmcnt(0)                               // lgkmcnt=0 vmcnt=-14wait for local read


	;; [unrolled: 1-line block ×3, first 2 shown]
/* tail loop mfma iter 3: numReadsIterCoalescedA=1, numReadsIterCoalescedB=1 */
v_and_b32 v89, 63, v[vgprSerial]                   // v89 = v[vgprSerial] % 64
v_lshrrev_b32 v89, 4, v89                          // v89 = v89 / 16
                                                   // v89 = v89 * 1 (multiplier is 1, do nothing)
v_cmp_ge_i32 s[32:33], v89, s[sgprLoopCounterL]    // check K index >= Size L
v_cndmask_b32 v[vgprValuA_X3_I0+0+0+0+0], v[vgprValuA_X3_I0+0+0+0+0], 0x0, s[32:33] // set 0 if K_idx >= sizeL
v_cndmask_b32 v[vgprValuA_X3_I0+2+0+0+0], v[vgprValuA_X3_I0+2+0+0+0], 0x0, s[32:33] // set 0 if K_idx >= sizeL
	;; [unrolled: 1-line block ×4, first 2 shown]
s_nop 1
v_add_f32 v89, -v[vgprValuA_X3_I0+0+0+0], 0        // Ar=-Ar
v_mfma_f32_16x16x4f32 v[0+0:3+0], v[vgprValuB_X3_I0+0+0+0], v[vgprValuA_X3_I0+0+0+0], v[0:3]
 // Cr += Ar*Br
v_mfma_f32_16x16x4f32 v[16+0:19+0], v[vgprValuB_X3_I0+0+0+0], v[vgprValuA_X3_I0+0+0+0+1], v[16:19]
 // Ci += Ai*Br
v_mfma_f32_16x16x4f32 v[0+0:3+0], v[vgprValuB_X3_I0+0+0+0+1], v[vgprValuA_X3_I0+0+0+0+1], v[0:3]
 // Cr += Ai*Bi
v_mfma_f32_16x16x4f32 v[16+0:19+0], v[vgprValuB_X3_I0+0+0+0+1], v89, v[16:19]
 // Ci += -Ar*Bi
v_mfma_f32_16x16x4f32 v[8+0:11+0], v[vgprValuB_X3_I0+2+0+0], v[vgprValuA_X3_I0+0+0+0], v[8:11]
 // Cr += Ar*Br
v_mfma_f32_16x16x4f32 v[24+0:27+0], v[vgprValuB_X3_I0+2+0+0], v[vgprValuA_X3_I0+0+0+0+1], v[24:27]
 // Ci += Ai*Br
v_mfma_f32_16x16x4f32 v[8+0:11+0], v[vgprValuB_X3_I0+2+0+0+1], v[vgprValuA_X3_I0+0+0+0+1], v[8:11]
 // Cr += Ai*Bi
v_mfma_f32_16x16x4f32 v[24+0:27+0], v[vgprValuB_X3_I0+2+0+0+1], v89, v[24:27]
 // Ci += -Ar*Bi
v_add_f32 v89, -v[vgprValuA_X3_I0+2+0+0], 0        // Ar=-Ar
v_mfma_f32_16x16x4f32 v[4+0:7+0], v[vgprValuB_X3_I0+0+0+0], v[vgprValuA_X3_I0+2+0+0], v[4:7]
 // Cr += Ar*Br
v_mfma_f32_16x16x4f32 v[20+0:23+0], v[vgprValuB_X3_I0+0+0+0], v[vgprValuA_X3_I0+2+0+0+1], v[20:23]
 // Ci += Ai*Br
v_mfma_f32_16x16x4f32 v[4+0:7+0], v[vgprValuB_X3_I0+0+0+0+1], v[vgprValuA_X3_I0+2+0+0+1], v[4:7]
 // Cr += Ai*Bi
v_mfma_f32_16x16x4f32 v[20+0:23+0], v[vgprValuB_X3_I0+0+0+0+1], v89, v[20:23]
 // Ci += -Ar*Bi
v_mfma_f32_16x16x4f32 v[12+0:15+0], v[vgprValuB_X3_I0+2+0+0], v[vgprValuA_X3_I0+2+0+0], v[12:15]
 // Cr += Ar*Br
v_mfma_f32_16x16x4f32 v[28+0:31+0], v[vgprValuB_X3_I0+2+0+0], v[vgprValuA_X3_I0+2+0+0+1], v[28:31]
 // Ci += Ai*Br
v_mfma_f32_16x16x4f32 v[12+0:15+0], v[vgprValuB_X3_I0+2+0+0+1], v[vgprValuA_X3_I0+2+0+0+1], v[12:15]
 // Cr += Ai*Bi
v_mfma_f32_16x16x4f32 v[28+0:31+0], v[vgprValuB_X3_I0+2+0+0+1], v89, v[28:31]
 // Ci += -Ar*Bi


/* closeLoop loopL finalLoop=1 tailLoop=1 */
s_sub_i32 s[sgprLoopCounterL], s[sgprLoopCounterL], 0x4 // dec counterL (tailLoop)
s_add_u32 s[sgprOrigLoopCounter], s[sgprOrigLoopCounter], 0x4 // inc counterL
s_cmp_le_i32 s[sgprLoopCounterL], 0x0              // counterL<=0
s_cbranch_scc0 TailLoopBeginL_6                    // restart LoopL
TailLoopEndL_7:

SkipTailLoopL_8:

Summation_End_30:
s_setprio 0                                        // optimization store
/* endSummation: add vgpr [32...86) to pool */
.set NumFullBlocks, UNDEF
.set WgmRemainder1, UNDEF
.set MagicNumberWgmRemainder1, UNDEF

/* Mapping of Acc register -> C Vgpr register */

/* Multiply MI out register with Alpha -> C Vgpr register */


/* shift vector components d1 */

v_mov_b32 v33, s[sgprWorkGroup1]                   // 
v_mul_i32_i24 v33, -0x40, v33                      // wg*MT
_v_add_co_u32 v33, vcc, s[sgprSizesFree+1], v33    // wgMT = Size - wg*MT
v_mov_b32 v34, 0x40                                // MT
v_min_u32 v33, v34, v33                            // wgMT = (wgMT < MT) ? wgMT : MT
v_lshrrev_b32 v32, 7, v[vgprSerial]                // v32 = v[vgprSerial] / 128
v_and_b32 v35, 1, v32                              // v35 = v32 % 2
v_lshrrev_b32 v32, 4, v33                          // v32 = v33 / 16
v_and_b32 v36, 1, v32                              // v36 = v32 % 2
v_cmp_eq_u32 s[32:33], v36, v35                    // wave_id == block_belong_to_wave?
v_cndmask_b32 v33, v34, v33, s[32:33]              // wgMT = (wgMT < MT) ? wgMT : MT

/* mbReg: which mb block need to shift, mb(matrixInstCoal(16) * VectorWidth(1)) */
v_lshrrev_b32 v34, 4, v33                          // v34 = v33 / 16
v_lshlrev_b32 v36, 0x0, v35                        // v36 = v35 * 1
_v_sub_u32 v34, v34, v36                           // 

/* gbReg: glvw block id */
v_lshrrev_b32 v36, 1, v33                          // v36 = v33 / 2

/* tgbReg: glvw block id */
v_lshrrev_b32 v32, 4, v[vgprSerial]                // v32 = v[vgprSerial] / 16
v_and_b32 v37, 3, v32                              // v37 = v32 % 4
v_lshlrev_b32 v37, 0x2, v37                        // v37 = v37 * 4
v_lshrrev_b32 v37, 1, v37                          // v37 = v37 / 2
v_lshlrev_b32 v35, 0x3, v35                        // v35 = v35 * 8
_v_add_co_u32 v37, vcc, v35, v37                   // tgbReg = (tid_coal * continOut) / GLVW
_v_sub_u32 v36, v36, v37                           // 

/* vwReg: glvw in which vw block? */
v_and_b32 v35, 3, v33                              // permute register between threads
v_lshrrev_b32 v35, 1, v35                          // permute register between threads

/* rReg : reminder of M_size % GlobalLoadVectorWidth */
v_and_b32 v37, 1, v33                              // v37 = v33 % 2
v_cmp_eq_u32 vcc, v37, 0x1                         // wgMT%VW == 1
s_cbranch_vccnz label_0031                         // branch to shift d1 r=1
s_branch label_0038                                // no shifting

/******************************************/
/* shift d1 r=1                           */
/******************************************/
label_0031:
v_cmp_eq_u32 vcc, v34, 0x0                         // 
s_cbranch_vccnz label_0032                         // branch to shift d1 r1 mb0
v_cmp_eq_u32 vcc, v34, 0x2                         // 
s_cbranch_vccnz label_0035                         // branch to shift d1 r1 mb1

/******************************************/
/* shift d1 r=1 mb=0                      */
/******************************************/
label_0032: // r1 mb0 
v_cmp_eq_u32 vcc, v35, 0x0                         // 
s_cbranch_vccnz label_0033                         // branch to shift d1 r1 mb0 vw0
v_cmp_eq_u32 vcc, v35, 0x1                         // 
s_cbranch_vccnz label_0034                         // branch to shift d1 r1 mb0 vw1

/******************************************/
/* shift d1 r=1 mb=1                      */
/******************************************/
label_0035: // r1 mb1 
v_cmp_eq_u32 vcc, v35, 0x0                         // 
s_cbranch_vccnz label_0036                         // branch to shift d1 r1 mb1 vw0
v_cmp_eq_u32 vcc, v35, 0x1                         // 
s_cbranch_vccnz label_0037                         // branch to shift d1 r1 mb1 vw1

/******************************************/
/* shift d1 r=1 mb=0 vw0                  */
/******************************************/
label_0033: // r1 mb0 vw0 
s_mov_b32 s32, 0                                   // 
_v_cmpx_eq_u32 s[32:33], v36, s32                  // is thread in edge glvw region
v_and_b32 v32, 63, v[vgprSerial]                   // permute register between threads
v_lshlrev_b32 v32, 2, v32                          // permute register between threads
v_mov_b32 v0, v1                                   // glvw 1 mb 0 tt1 0 r 0
v_mov_b32 v16, v17                                 // glvw 1 mb 0 tt1 0 r 0
v_mov_b32 v4, v5                                   // glvw 1 mb 0 tt1 1 r 0
v_mov_b32 v20, v21                                 // glvw 1 mb 0 tt1 1 r 0
s_mov_b64 s[32:33], 0xFFFFFFFFFFFFFFFF             // to restore all threads active
s_or_saveexec_b64 vcc, s[32:33]                    // all threads active
s_branch label_0038                                // done shifting


/******************************************/
/* shift d1 r=1 mb=0 vw1                  */
/******************************************/
label_0034: // r1 mb0 vw1 
s_mov_b32 s32, 1                                   // 
_v_cmpx_eq_u32 s[32:33], v36, s32                  // is thread in edge glvw region
v_and_b32 v32, 63, v[vgprSerial]                   // permute register between threads
v_lshlrev_b32 v32, 2, v32                          // permute register between threads
v_mov_b32 v2, v3                                   // glvw 1 mb 0 tt1 0 r 0
v_mov_b32 v18, v19                                 // glvw 1 mb 0 tt1 0 r 0
v_mov_b32 v6, v7                                   // glvw 1 mb 0 tt1 1 r 0
v_mov_b32 v22, v23                                 // glvw 1 mb 0 tt1 1 r 0
s_mov_b64 s[32:33], 0xFFFFFFFFFFFFFFFF             // to restore all threads active
s_or_saveexec_b64 vcc, s[32:33]                    // all threads active
s_branch label_0038                                // done shifting


/******************************************/
/* shift d1 r=1 mb=1 vw0                  */
/******************************************/
label_0036: // r1 mb1 vw0 
s_mov_b32 s32, 16                                  // 
_v_cmpx_eq_u32 s[32:33], v36, s32                  // is thread in edge glvw region
v_and_b32 v32, 63, v[vgprSerial]                   // permute register between threads
v_lshlrev_b32 v32, 2, v32                          // permute register between threads
v_mov_b32 v8, v9                                   // glvw 1 mb 1 tt1 0 r 0
v_mov_b32 v24, v25                                 // glvw 1 mb 1 tt1 0 r 0
v_mov_b32 v12, v13                                 // glvw 1 mb 1 tt1 1 r 0
	;; [unrolled: 1-line block ×3, first 2 shown]
s_mov_b64 s[32:33], 0xFFFFFFFFFFFFFFFF             // to restore all threads active
s_or_saveexec_b64 vcc, s[32:33]                    // all threads active
s_branch label_0038                                // done shifting


/******************************************/
/* shift d1 r=1 mb=1 vw1                  */
/******************************************/
label_0037: // r1 mb1 vw1 
s_mov_b32 s32, 17                                  // 
_v_cmpx_eq_u32 s[32:33], v36, s32                  // is thread in edge glvw region
v_and_b32 v32, 63, v[vgprSerial]                   // permute register between threads
v_lshlrev_b32 v32, 2, v32                          // permute register between threads
v_mov_b32 v10, v11                                 // glvw 1 mb 1 tt1 0 r 0
v_mov_b32 v26, v27                                 // glvw 1 mb 1 tt1 0 r 0
	;; [unrolled: 1-line block ×4, first 2 shown]
s_mov_b64 s[32:33], 0xFFFFFFFFFFFFFFFF             // to restore all threads active
s_or_saveexec_b64 vcc, s[32:33]                    // all threads active
s_branch label_0038                                // done shifting

label_0038: // end shift0


	;; [unrolled: 1-line block ×3, first 2 shown]
/* not-LocalSplitU: global write indices */

/* computeStoreVgprs */
v_lshrrev_b32 v36, 6, v[vgprSerial]                // v36 = v[vgprSerial] / 64
v_and_b32 v33, 63, v[vgprSerial]                   // v33 = v[vgprSerial] % 64
v_lshrrev_b32 v33, 4, v33                          // v33 = v33 / 16
v_lshlrev_b32 v33, 0x2, v33                        // thread0 * continuous_output
v_lshrrev_b32 v37, 1, v36                          // v37 = v36 / 2
v_mul_lo_u32 v37, 0x10, v37                        // wave coordination offset 1
_v_add_lshl_u32 v33, v37, v33, 0                   // coordination 1 = vwb *(wave_id1 + tid1)
v_mul_lo_u32 v34, v33, s[sgprStrideC1J]            //  offset 1
v_mul_lo_u32 v35, v33, s[sgprStrideD1J]            //  offset 1
v_and_b32 v37, 1, v36                              // v37 = v36 % 2
v_mul_lo_u32 v37, 0x10, v37                        // wave coordination offset 0
v_and_b32 v32, 15, v[vgprSerial]                   // v32 = v[vgprSerial] % 16
_v_add_lshl_u32 v32, v37, v32, 1                   // coordination 0 = vwa *(wave_id0 + tid0)
s_mul_i32 s31, 64, s[sgprWorkGroup0]               // wgp0 * MT0
_v_add_u32 v32, s31, v32                           // coord 0 = (tid0/MI_m)*4 + waveG0*MIB_m + MT0*SG0
s_mul_i32 s31, 64, s[sgprWorkGroup1]               // wgp1 * MT1
_v_add_u32 v33, s31, v33                           // coord 1 = (tid0%MI_m) + waveG1*MIB_n + MT1*SG1


/* not-LocalSplitU: global write */

s_mov_b32 s31, s[sgprBeta+0]                       // tmp = Beta[0]
s_or_b32 s31, s[sgprBeta+1], s31                   // tmp |= Beta[1] 
s_cmpk_eq_u32 s31, 0x0                             // Beta == 0
s_cbranch_scc0 GW_Beta_59                          // Branch if Beta is not zero

s_and_b32 s32, 63, s[sgprSizeI]                    // s32 = s[sgprSizeI] % 64
s_add_u32 s33, -0x1, s[sgprNumWorkGroups0]         // 
s_cmp_ge_u32 s[sgprWorkGroup0], s33                // wg0 >= nwg0-1 ?
s_cselect_b32 s32, s32, 0                          // set rMT0
s_cmpk_gt_u32 s32, 0x0                             // rMT0 > 0
s_cbranch_scc1 GW_B0_E1_50                         // jump if edges required
s_and_b32 s32, 63, s[sgprSizeJ]                    // s32 = s[sgprSizeJ] % 64
s_add_u32 s33, -0x1, s[sgprNumWorkGroups1]         // 
s_cmp_ge_u32 s[sgprWorkGroup1], s33                // wg1 >= nwg1-1
s_cselect_b32 s32, s32, 0                          // set rMT1
s_cmpk_gt_u32 s32, 0x0                             // rMT1 > 0
s_cbranch_scc1 GW_B0_E1_50                         // jump if edges required
GW_B0_E0_47:

/* edge=0, allocate 2 sgpr. perBatchTmpS=2 perBatchMaskS=0 perElementMaskS=0 elementsPerBatch=30 */
/* optSingleColVgpr=1 optSharedColVgpr=0 optSGPRUsage=BufferLoad_Mask optSrdIncForRow=1 */
s_sleep 3 // optimization: sync and wait
s_barrier

/******************************************/
/* Global Write Alpha Batch #0 (d1,d0,vc1,vc0) = */
/*    (0,0,0,0:vw2); (0,0,1,0:vw2); (0,0,2,0:vw2); (0,0,3,0:vw2); (1,0,0,0:vw2); (1,0,1,0:vw2); (1,0,2,0:vw2); (1,0,3,0:vw2) */
/******************************************/

/* calc coords, apply mask, and issue loads (if necessary) */
/* (d1,vc1,d0,vc0)=(0,0,0,0) */
/* (d1,vc1,d0,vc0)=(0,1,0,0) */
	;; [unrolled: 1-line block ×8, first 2 shown]
_v_add_lshl_u32 v38, v35, v32, 0x3                 // optSingleColVgpr scaleToBpe: sharedAddrVgpr <- cinRowPtr + coord0, scaled by BPE. BSHERE:coord0=32, coord0Vgpr=32

/* rC *= alpha batchElements=[(0, 0, 0, 0), (0, 0, 1, 0), (0, 0, 2, 0), (0, 0, 3, 0), (1, 0, 0, 0), (1, 0, 1, 0), (1, 0, 2, 0), (1, 0, 3, 0)] */
v_mul_f32 v36, s[sgprAlpha+0], v[vgprValuC+0] // 
v_mul_f32 v37, s[sgprAlpha+1], v[vgprValuC+0] // 
v_fma_f32 v[vgprValuC+40], s[sgprAlpha+1], -v[vgprValuC+16], v36
v_fma_f32 v[vgprValuC+40 +1], s[sgprAlpha+0], v[vgprValuC+16], v37
v_mul_f32 v36, s[sgprAlpha+0], v[vgprValuC+4] // 
v_mul_f32 v37, s[sgprAlpha+1], v[vgprValuC+4] // 
v_fma_f32 v[vgprValuC+42], s[sgprAlpha+1], -v[vgprValuC+20], v36
v_fma_f32 v[vgprValuC+42 +1], s[sgprAlpha+0], v[vgprValuC+20], v37
	;; [unrolled: 4-line block ×16, first 2 shown]

/* apply mask, calc new C and issue writes */
_buffer_store_b128 v[40:43], v38, s[sgprSrdD:sgprSrdD+3], 0, offen, offset:0,  glc slc // store D
s_lshl_b32  s32, s[sgprStrideD1J], 3               // incToNextRow: Scale by BPE
s_add_u32  s[sgprSrdD+0], s[sgprSrdD+0], s32       // incToNextRow: gra SRD += inc(lower)
s_addc_u32  s[sgprSrdD+1], s[sgprSrdD+1], 0        // incToNextRow: gra SRD += inc(upper)
_buffer_store_b128 v[44:47], v38, s[sgprSrdD:sgprSrdD+3], 0, offen, offset:0,  glc slc // store D
s_lshl_b32  s32, s[sgprStrideD1J], 3               // incToNextRow: Scale by BPE
s_add_u32  s[sgprSrdD+0], s[sgprSrdD+0], s32       // incToNextRow: gra SRD += inc(lower)
s_addc_u32  s[sgprSrdD+1], s[sgprSrdD+1], 0        // incToNextRow: gra SRD += inc(upper)
	;; [unrolled: 4-line block ×3, first 2 shown]
_buffer_store_b128 v[52:55], v38, s[sgprSrdD:sgprSrdD+3], 0, offen, offset:0,  glc slc // store D
s_mul_i32 s32, s[sgprStrideD1J], 232               // scale StrideD *= numRows(29) * bpe
s_add_u32  s[sgprSrdD+0], s[sgprSrdD+0], s32       // incToNextRow: gra SRD += inc(lower)
s_addc_u32  s[sgprSrdD+1], s[sgprSrdD+1], 0        // incToNextRow: gra SRD += inc(upper)
_buffer_store_b128 v[56:59], v38, s[sgprSrdD:sgprSrdD+3], 0, offen, offset:0,  glc slc // store D
s_lshl_b32  s32, s[sgprStrideD1J], 3               // incToNextRow: Scale by BPE
s_add_u32  s[sgprSrdD+0], s[sgprSrdD+0], s32       // incToNextRow: gra SRD += inc(lower)
s_addc_u32  s[sgprSrdD+1], s[sgprSrdD+1], 0        // incToNextRow: gra SRD += inc(upper)
_buffer_store_b128 v[60:63], v38, s[sgprSrdD:sgprSrdD+3], 0, offen, offset:0,  glc slc // store D
s_lshl_b32  s32, s[sgprStrideD1J], 3               // incToNextRow: Scale by BPE
	;; [unrolled: 4-line block ×3, first 2 shown]
s_add_u32  s[sgprSrdD+0], s[sgprSrdD+0], s32       // incToNextRow: gra SRD += inc(lower)
s_addc_u32  s[sgprSrdD+1], s[sgprSrdD+1], 0        // incToNextRow: gra SRD += inc(upper)
_buffer_store_b128 v[68:71], v38, s[sgprSrdD:sgprSrdD+3], 0, offen, offset:0,  glc slc // store D
s_nop 0                                            // 1 wait state required when next inst writes vgprs held by previous dwordx4 store inst
s_branch label_GW_End_58                           // jump to end
GW_B0_E1_50:

/* edge=1, allocate 6 sgpr. perBatchTmpS=4 perBatchMaskS=2 perElementMaskS=0 elementsPerBatch=42 */
/* optSingleColVgpr=0 optSharedColVgpr=0 optSGPRUsage=BufferLoad_Edge_Mask optSrdIncForRow=0 */
s_sleep 3 // optimization: sync and wait
s_barrier

/******************************************/
/* Global Write Alpha Edge Batch #0 (d1,d0,vc1,vc0) = */
/*    (0,0,0,0:vw1); (0,0,0,1:vw1); (0,0,1,0:vw1); (0,0,1,1:vw1); (0,0,2,0:vw1); (0,0,2,1:vw1); (0,0,3,0:vw1); (0,0,3,1:vw1); (1,0,0,0:vw1); (1,0,0,1:vw1); (1,0,1,0:vw1); (1,0,1,1:vw1); (1,0,2,0:vw1); (1,0,2,1:vw1); (1,0,3,0:vw1); (1,0,3,1:vw1) */
/******************************************/

/* calc coords, apply mask, and issue loads (if necessary) */
/* (d1,vc1,d0,vc0)=(0,0,0,0) */
v_cmp_lt_u32 s[54:55], v32, s[sgprSizeI]           // coord0 < size0
v_cmp_lt_u32 s[58:59], v33, s[sgprSizeJ]           // coord1 < size1
s_and_b64 s[58:59], s[54:55], s[58:59]             // in0 && in1
_v_add_lshl_u32 v38, v35, v32, 0x3                 // scaleToBpe: accumulate d0 lower and *= bpe into Cin addr
v_cndmask_b32 v38, -1, v38, s[58:59]               // LDD clip if OOB. offset
/* (d1,vc1,d0,vc0)=(0,0,0,1) */
_v_add_co_u32 v36, vcc, v32, 1                     // coord0.1: coord0 += d0*sg0*VW + vc0
v_cmp_lt_u32 s[54:55], v36, s[sgprSizeI]           // coord0 < size0
v_cmp_lt_u32 s[58:59], v33, s[sgprSizeJ]           // coord1 < size1
s_and_b64 s[58:59], s[54:55], s[58:59]             // in0 && in1
_v_add_lshl_u32 v39, v35, v36, 0x3                 // scaleToBpe: accumulate d0 lower and *= bpe into Cin addr
v_cndmask_b32 v39, -1, v39, s[58:59]               // LDD clip if OOB. offset
/* (d1,vc1,d0,vc0)=(0,1,0,0) */
_v_add_co_u32 v33, vcc, v33, 1                     // coord1.1: coord1Vgpr += d1*sg1*VW + vc1

/* Fix for UseInitialStridesCD, emitAddressSetupCode */
_v_add_u32 v34, v34, s[sgprStrideC1J]              // ROWINC- Move cinRowPtr to next row
_v_add_u32 v35, v35, s[sgprStrideD1J]              // Move coutRowPtr to next row
v_cmp_lt_u32 s[54:55], v32, s[sgprSizeI]           // coord0 < size0
v_cmp_lt_u32 s[58:59], v33, s[sgprSizeJ]           // coord1 < size1
s_and_b64 s[58:59], s[54:55], s[58:59]             // in0 && in1
_v_add_lshl_u32 v44, v35, v32, 0x3                 // scaleToBpe: accumulate d0 lower and *= bpe into Cin addr
v_cndmask_b32 v44, -1, v44, s[58:59]               // LDD clip if OOB. offset
/* (d1,vc1,d0,vc0)=(0,1,0,1) */
_v_add_co_u32 v36, vcc, v32, 1                     // coord0.1: coord0 += d0*sg0*VW + vc0
v_cmp_lt_u32 s[54:55], v36, s[sgprSizeI]           // coord0 < size0
v_cmp_lt_u32 s[58:59], v33, s[sgprSizeJ]           // coord1 < size1
s_and_b64 s[58:59], s[54:55], s[58:59]             // in0 && in1
_v_add_lshl_u32 v45, v35, v36, 0x3                 // scaleToBpe: accumulate d0 lower and *= bpe into Cin addr
v_cndmask_b32 v45, -1, v45, s[58:59]               // LDD clip if OOB. offset
/* (d1,vc1,d0,vc0)=(0,2,0,0) */
_v_add_co_u32 v33, vcc, v33, 1                     // coord1.1: coord1Vgpr += d1*sg1*VW + vc1

/* Fix for UseInitialStridesCD, emitAddressSetupCode */
_v_add_u32 v34, v34, s[sgprStrideC1J]              // ROWINC- Move cinRowPtr to next row
_v_add_u32 v35, v35, s[sgprStrideD1J]              // Move coutRowPtr to next row
	;; [unrolled: 18-line block ×3, first 2 shown]
v_cmp_lt_u32 s[54:55], v32, s[sgprSizeI]           // coord0 < size0
v_cmp_lt_u32 s[58:59], v33, s[sgprSizeJ]           // coord1 < size1
s_and_b64 s[58:59], s[54:55], s[58:59]             // in0 && in1
_v_add_lshl_u32 v56, v35, v32, 0x3                 // scaleToBpe: accumulate d0 lower and *= bpe into Cin addr
v_cndmask_b32 v56, -1, v56, s[58:59]               // LDD clip if OOB. offset
/* (d1,vc1,d0,vc0)=(0,3,0,1) */
_v_add_co_u32 v36, vcc, v32, 1                     // coord0.1: coord0 += d0*sg0*VW + vc0
v_cmp_lt_u32 s[54:55], v36, s[sgprSizeI]           // coord0 < size0
v_cmp_lt_u32 s[58:59], v33, s[sgprSizeJ]           // coord1 < size1
s_and_b64 s[58:59], s[54:55], s[58:59]             // in0 && in1
_v_add_lshl_u32 v57, v35, v36, 0x3                 // scaleToBpe: accumulate d0 lower and *= bpe into Cin addr
v_cndmask_b32 v57, -1, v57, s[58:59]               // LDD clip if OOB. offset
/* (d1,vc1,d0,vc0)=(1,0,0,0) */
_v_add_co_u32 v33, vcc, v33, 29                    // coord1.1: coord1Vgpr += d1*sg1*VW + vc1

/* Fix for UseInitialStridesCD, emitAddressSetupCode */
s_mul_i32 s54, s[sgprStrideC1J], 29                // scale stride
_v_add_u32 v34, v34, s54                           // ROWINC- Move cinRowPtr to next row
s_mul_i32 s54, s[sgprStrideD1J], 29                // scale stride
_v_add_u32 v35, v35, s54                           // Move coutRowPtr to next row
v_cmp_lt_u32 s[54:55], v32, s[sgprSizeI]           // coord0 < size0
v_cmp_lt_u32 s[58:59], v33, s[sgprSizeJ]           // coord1 < size1
s_and_b64 s[58:59], s[54:55], s[58:59]             // in0 && in1
_v_add_lshl_u32 v62, v35, v32, 0x3                 // scaleToBpe: accumulate d0 lower and *= bpe into Cin addr
v_cndmask_b32 v62, -1, v62, s[58:59]               // LDD clip if OOB. offset
/* (d1,vc1,d0,vc0)=(1,0,0,1) */
_v_add_co_u32 v36, vcc, v32, 1                     // coord0.1: coord0 += d0*sg0*VW + vc0
v_cmp_lt_u32 s[54:55], v36, s[sgprSizeI]           // coord0 < size0
v_cmp_lt_u32 s[58:59], v33, s[sgprSizeJ]           // coord1 < size1
s_and_b64 s[58:59], s[54:55], s[58:59]             // in0 && in1
_v_add_lshl_u32 v63, v35, v36, 0x3                 // scaleToBpe: accumulate d0 lower and *= bpe into Cin addr
v_cndmask_b32 v63, -1, v63, s[58:59]               // LDD clip if OOB. offset
/* (d1,vc1,d0,vc0)=(1,1,0,0) */
_v_add_co_u32 v33, vcc, v33, 1                     // coord1.1: coord1Vgpr += d1*sg1*VW + vc1

/* Fix for UseInitialStridesCD, emitAddressSetupCode */
_v_add_u32 v34, v34, s[sgprStrideC1J]              // ROWINC- Move cinRowPtr to next row
_v_add_u32 v35, v35, s[sgprStrideD1J]              // Move coutRowPtr to next row
v_cmp_lt_u32 s[54:55], v32, s[sgprSizeI]           // coord0 < size0
v_cmp_lt_u32 s[58:59], v33, s[sgprSizeJ]           // coord1 < size1
s_and_b64 s[58:59], s[54:55], s[58:59]             // in0 && in1
_v_add_lshl_u32 v68, v35, v32, 0x3                 // scaleToBpe: accumulate d0 lower and *= bpe into Cin addr
v_cndmask_b32 v68, -1, v68, s[58:59]               // LDD clip if OOB. offset
/* (d1,vc1,d0,vc0)=(1,1,0,1) */
_v_add_co_u32 v36, vcc, v32, 1                     // coord0.1: coord0 += d0*sg0*VW + vc0
v_cmp_lt_u32 s[54:55], v36, s[sgprSizeI]           // coord0 < size0
v_cmp_lt_u32 s[58:59], v33, s[sgprSizeJ]           // coord1 < size1
s_and_b64 s[58:59], s[54:55], s[58:59]             // in0 && in1
_v_add_lshl_u32 v69, v35, v36, 0x3                 // scaleToBpe: accumulate d0 lower and *= bpe into Cin addr
v_cndmask_b32 v69, -1, v69, s[58:59]               // LDD clip if OOB. offset
/* (d1,vc1,d0,vc0)=(1,2,0,0) */
_v_add_co_u32 v33, vcc, v33, 1                     // coord1.1: coord1Vgpr += d1*sg1*VW + vc1

/* Fix for UseInitialStridesCD, emitAddressSetupCode */
_v_add_u32 v34, v34, s[sgprStrideC1J]              // ROWINC- Move cinRowPtr to next row
_v_add_u32 v35, v35, s[sgprStrideD1J]              // Move coutRowPtr to next row
	;; [unrolled: 18-line block ×3, first 2 shown]
v_cmp_lt_u32 s[54:55], v32, s[sgprSizeI]           // coord0 < size0
v_cmp_lt_u32 s[58:59], v33, s[sgprSizeJ]           // coord1 < size1
s_and_b64 s[58:59], s[54:55], s[58:59]             // in0 && in1
_v_add_lshl_u32 v80, v35, v32, 0x3                 // scaleToBpe: accumulate d0 lower and *= bpe into Cin addr
v_cndmask_b32 v80, -1, v80, s[58:59]               // LDD clip if OOB. offset
/* (d1,vc1,d0,vc0)=(1,3,0,1) */
_v_add_co_u32 v36, vcc, v32, 1                     // coord0.1: coord0 += d0*sg0*VW + vc0
v_cmp_lt_u32 s[54:55], v36, s[sgprSizeI]           // coord0 < size0
v_cmp_lt_u32 s[58:59], v33, s[sgprSizeJ]           // coord1 < size1
s_and_b64 s[58:59], s[54:55], s[58:59]             // in0 && in1
_v_add_lshl_u32 v81, v35, v36, 0x3                 // scaleToBpe: accumulate d0 lower and *= bpe into Cin addr
v_cndmask_b32 v81, -1, v81, s[58:59]               // LDD clip if OOB. offset

/* rC *= alpha batchElements=[(0, 0, 0, 0), (0, 0, 0, 1), (0, 0, 1, 0), (0, 0, 1, 1), (0, 0, 2, 0), (0, 0, 2, 1), (0, 0, 3, 0), (0, 0, 3, 1), (1, 0, 0, 0), (1, 0, 0, 1), (1, 0, 1, 0), (1, 0, 1, 1), (1, 0, 2, 0), (1, 0, 2, 1), (1, 0, 3, 0), (1, 0, 3, 1)] */
v_mul_f32 v36, s[sgprAlpha+0], v[vgprValuC+0] // 
v_mul_f32 v37, s[sgprAlpha+1], v[vgprValuC+0] // 
v_fma_f32 v[vgprValuC+40], s[sgprAlpha+1], -v[vgprValuC+16], v36
v_fma_f32 v[vgprValuC+40 +1], s[sgprAlpha+0], v[vgprValuC+16], v37
v_mul_f32 v36, s[sgprAlpha+0], v[vgprValuC+4] // 
v_mul_f32 v37, s[sgprAlpha+1], v[vgprValuC+4] // 
v_fma_f32 v[vgprValuC+42], s[sgprAlpha+1], -v[vgprValuC+20], v36
v_fma_f32 v[vgprValuC+42 +1], s[sgprAlpha+0], v[vgprValuC+20], v37
	;; [unrolled: 4-line block ×16, first 2 shown]

/* apply mask, calc new C and issue writes */
_buffer_store_b64 v[40:41], v38, s[sgprSrdD:sgprSrdD+3], 0, offen, offset:0,  glc slc // store D
_buffer_store_b64 v[42:43], v39, s[sgprSrdD:sgprSrdD+3], 0, offen, offset:0,  glc slc // store D
	;; [unrolled: 1-line block ×16, first 2 shown]
s_nop 0                                            // 1 wait state required when next inst writes vgprs held by previous dwordx4 store inst
s_branch label_GW_End_58                           // jump to end
GW_Beta_59:
s_and_b32 s32, 63, s[sgprSizeI]                    // s32 = s[sgprSizeI] % 64
s_add_u32 s33, -0x1, s[sgprNumWorkGroups0]         // 
s_cmp_ge_u32 s[sgprWorkGroup0], s33                // wg0 >= nwg0-1 ?
s_cselect_b32 s32, s32, 0                          // set rMT0
s_cmpk_gt_u32 s32, 0x0                             // rMT0 > 0
s_cbranch_scc1 GW_B1_E1_57                         // jump if edges required
s_and_b32 s32, 63, s[sgprSizeJ]                    // s32 = s[sgprSizeJ] % 64
s_add_u32 s33, -0x1, s[sgprNumWorkGroups1]         // 
s_cmp_ge_u32 s[sgprWorkGroup1], s33                // wg1 >= nwg1-1
s_cselect_b32 s32, s32, 0                          // set rMT1
s_cmpk_gt_u32 s32, 0x0                             // rMT1 > 0
s_cbranch_scc1 GW_B1_E1_57                         // jump if edges required
GW_B1_E0_54:

/* edge=0, allocate 2 sgpr. perBatchTmpS=2 perBatchMaskS=0 perElementMaskS=0 elementsPerBatch=14 */
/* optSingleColVgpr=1 optSharedColVgpr=0 optSGPRUsage=BufferLoad_Mask optSrdIncForRow=1 */
s_sleep 3 // optimization: sync and wait
s_barrier

/******************************************/
/* Global Write Alpha Beta Batch #0 (d1,d0,vc1,vc0) = */
/*    (0,0,0,0:vw2); (0,0,1,0:vw2); (0,0,2,0:vw2); (0,0,3,0:vw2); (1,0,0,0:vw2); (1,0,1,0:vw2); (1,0,2,0:vw2); (1,0,3,0:vw2) */
/******************************************/

/* calc coords, apply mask, and issue loads (if necessary) */

/* rC *= alpha batchElements=[(0, 0, 0, 0), (0, 0, 1, 0), (0, 0, 2, 0), (0, 0, 3, 0), (1, 0, 0, 0), (1, 0, 1, 0), (1, 0, 2, 0), (1, 0, 3, 0)] */
v_mul_f32 v36, s[sgprAlpha+0], v[vgprValuC+0] // 
v_mul_f32 v37, s[sgprAlpha+1], v[vgprValuC+0] // 
v_fma_f32 v[vgprValuC+44], s[sgprAlpha+1], -v[vgprValuC+16], v36
v_fma_f32 v[vgprValuC+44 +1], s[sgprAlpha+0], v[vgprValuC+16], v37
v_mul_f32 v36, s[sgprAlpha+0], v[vgprValuC+4] // 
v_mul_f32 v37, s[sgprAlpha+1], v[vgprValuC+4] // 
v_fma_f32 v[vgprValuC+46], s[sgprAlpha+1], -v[vgprValuC+20], v36
v_fma_f32 v[vgprValuC+46 +1], s[sgprAlpha+0], v[vgprValuC+20], v37
	;; [unrolled: 4-line block ×16, first 2 shown]
/* (d1,vc1,d0,vc0)=(0,0,0,0) */
_v_add_lshl_u32 v39, v34, v32, 0x3                 // optSingleColVgpr scaleToBpe: sharedAddrVgpr <- cinRowPtr + coord0, scaled by BPE. BSHERE:coord0=32, coord0Vgpr=32
_buffer_load_b128 v[40:43], v39, s[sgprSrdC:sgprSrdC+3], 0, offen offset:0,  glc slc // load C for beta calc
/* (d1,vc1,d0,vc0)=(0,1,0,0) */
s_lshl_b32  s32, s[sgprStrideC1J], 3               // incToNextRow: Scale by BPE
s_add_u32  s[sgprSrdC+0], s[sgprSrdC+0], s32       // incToNextRow: gra SRD += inc(lower)
s_addc_u32  s[sgprSrdC+1], s[sgprSrdC+1], 0        // incToNextRow: gra SRD += inc(upper)
_buffer_load_b128 v[48:51], v39, s[sgprSrdC:sgprSrdC+3], 0, offen offset:0,  glc slc // load C for beta calc
/* (d1,vc1,d0,vc0)=(0,2,0,0) */
s_lshl_b32  s32, s[sgprStrideC1J], 3               // incToNextRow: Scale by BPE
s_add_u32  s[sgprSrdC+0], s[sgprSrdC+0], s32       // incToNextRow: gra SRD += inc(lower)
s_addc_u32  s[sgprSrdC+1], s[sgprSrdC+1], 0        // incToNextRow: gra SRD += inc(upper)
	;; [unrolled: 5-line block ×3, first 2 shown]
_buffer_load_b128 v[64:67], v39, s[sgprSrdC:sgprSrdC+3], 0, offen offset:0,  glc slc // load C for beta calc
/* (d1,vc1,d0,vc0)=(1,0,0,0) */
s_mul_i32 s32, s[sgprStrideC1J], 232               // scale StrideC *= numRows(29) * bpe
s_add_u32  s[sgprSrdC+0], s[sgprSrdC+0], s32       // incToNextRow: gra SRD += inc(lower)
s_addc_u32  s[sgprSrdC+1], s[sgprSrdC+1], 0        // incToNextRow: gra SRD += inc(upper)
_buffer_load_b128 v[72:75], v39, s[sgprSrdC:sgprSrdC+3], 0, offen offset:0,  glc slc // load C for beta calc
/* (d1,vc1,d0,vc0)=(1,1,0,0) */
s_lshl_b32  s32, s[sgprStrideC1J], 3               // incToNextRow: Scale by BPE
s_add_u32  s[sgprSrdC+0], s[sgprSrdC+0], s32       // incToNextRow: gra SRD += inc(lower)
s_addc_u32  s[sgprSrdC+1], s[sgprSrdC+1], 0        // incToNextRow: gra SRD += inc(upper)
_buffer_load_b128 v[80:83], v39, s[sgprSrdC:sgprSrdC+3], 0, offen offset:0,  glc slc // load C for beta calc
/* (d1,vc1,d0,vc0)=(1,2,0,0) */
s_lshl_b32  s32, s[sgprStrideC1J], 3               // incToNextRow: Scale by BPE
	;; [unrolled: 5-line block ×3, first 2 shown]
s_add_u32  s[sgprSrdC+0], s[sgprSrdC+0], s32       // incToNextRow: gra SRD += inc(lower)
s_addc_u32  s[sgprSrdC+1], s[sgprSrdC+1], 0        // incToNextRow: gra SRD += inc(upper)
_buffer_load_b128 v[104:107], v39, s[sgprSrdC:sgprSrdC+3], 0, offen offset:0,  glc slc // load C for beta calc
_v_add_lshl_u32 v38, v35, v32, 0x3                 // optSingleColVgpr scaleToBpe: sharedAddrVgpr <- cinRowPtr + coord0, scaled by BPE. BSHERE:coord0=32, coord0Vgpr=32
s_sleep 3 // optimization: sync and wait
s_barrier

/* apply mask, calc new C and issue writes */

s_waitcnt vmcnt(7)                                 // wait C (interleaved) 7 = 8 - 0 + 0 - 1
_v_mac_f32 v[vgprValuC+44], v40, s[sgprBeta]       // finalSum Cr += old Cr * Br
_v_mac_f32 v[vgprValuC+44], v41, -s[sgprBeta+1]    // finalSum Cr += old Ci * -Bi
_v_mac_f32 v[vgprValuC+45], v41, s[sgprBeta]       // finalSum Ci += old Ci * Br
_v_mac_f32 v[vgprValuC+45], v40, s[sgprBeta+1]     // finalSum Ci += old Cr * Bi
_v_mac_f32 v[vgprValuC+46], v42, s[sgprBeta]       // finalSum Cr += old Cr * Br
_v_mac_f32 v[vgprValuC+46], v43, -s[sgprBeta+1]    // finalSum Cr += old Ci * -Bi
_v_mac_f32 v[vgprValuC+47], v43, s[sgprBeta]       // finalSum Ci += old Ci * Br
_v_mac_f32 v[vgprValuC+47], v42, s[sgprBeta+1]     // finalSum Ci += old Cr * Bi
_buffer_store_b128 v[44:47], v38, s[sgprSrdD:sgprSrdD+3], 0, offen, offset:0,  glc slc // store D

s_waitcnt vmcnt(7)                                 // wait C (interleaved) 7 = 8 - 1 + 1 - 1
_v_mac_f32 v[vgprValuC+52], v48, s[sgprBeta]       // finalSum Cr += old Cr * Br
_v_mac_f32 v[vgprValuC+52], v49, -s[sgprBeta+1]    // finalSum Cr += old Ci * -Bi
_v_mac_f32 v[vgprValuC+53], v49, s[sgprBeta]       // finalSum Ci += old Ci * Br
_v_mac_f32 v[vgprValuC+53], v48, s[sgprBeta+1]     // finalSum Ci += old Cr * Bi
_v_mac_f32 v[vgprValuC+54], v50, s[sgprBeta]       // finalSum Cr += old Cr * Br
_v_mac_f32 v[vgprValuC+54], v51, -s[sgprBeta+1]    // finalSum Cr += old Ci * -Bi
_v_mac_f32 v[vgprValuC+55], v51, s[sgprBeta]       // finalSum Ci += old Ci * Br
_v_mac_f32 v[vgprValuC+55], v50, s[sgprBeta+1]     // finalSum Ci += old Cr * Bi
s_lshl_b32  s32, s[sgprStrideD1J], 3               // incToNextRow: Scale by BPE
s_add_u32  s[sgprSrdD+0], s[sgprSrdD+0], s32       // incToNextRow: gra SRD += inc(lower)
s_addc_u32  s[sgprSrdD+1], s[sgprSrdD+1], 0        // incToNextRow: gra SRD += inc(upper)
_buffer_store_b128 v[52:55], v38, s[sgprSrdD:sgprSrdD+3], 0, offen, offset:0,  glc slc // store D

s_waitcnt vmcnt(7)                                 // wait C (interleaved) 7 = 8 - 2 + 2 - 1
_v_mac_f32 v[vgprValuC+60], v56, s[sgprBeta]       // finalSum Cr += old Cr * Br
_v_mac_f32 v[vgprValuC+60], v57, -s[sgprBeta+1]    // finalSum Cr += old Ci * -Bi
_v_mac_f32 v[vgprValuC+61], v57, s[sgprBeta]       // finalSum Ci += old Ci * Br
_v_mac_f32 v[vgprValuC+61], v56, s[sgprBeta+1]     // finalSum Ci += old Cr * Bi
_v_mac_f32 v[vgprValuC+62], v58, s[sgprBeta]       // finalSum Cr += old Cr * Br
_v_mac_f32 v[vgprValuC+62], v59, -s[sgprBeta+1]    // finalSum Cr += old Ci * -Bi
_v_mac_f32 v[vgprValuC+63], v59, s[sgprBeta]       // finalSum Ci += old Ci * Br
_v_mac_f32 v[vgprValuC+63], v58, s[sgprBeta+1]     // finalSum Ci += old Cr * Bi
s_lshl_b32  s32, s[sgprStrideD1J], 3               // incToNextRow: Scale by BPE
s_add_u32  s[sgprSrdD+0], s[sgprSrdD+0], s32       // incToNextRow: gra SRD += inc(lower)
s_addc_u32  s[sgprSrdD+1], s[sgprSrdD+1], 0        // incToNextRow: gra SRD += inc(upper)
	;; [unrolled: 14-line block ×3, first 2 shown]
_buffer_store_b128 v[68:71], v38, s[sgprSrdD:sgprSrdD+3], 0, offen, offset:0,  glc slc // store D

s_waitcnt vmcnt(7)                                 // wait C (interleaved) 7 = 8 - 4 + 4 - 1
_v_mac_f32 v[vgprValuC+76], v72, s[sgprBeta]       // finalSum Cr += old Cr * Br
_v_mac_f32 v[vgprValuC+76], v73, -s[sgprBeta+1]    // finalSum Cr += old Ci * -Bi
_v_mac_f32 v[vgprValuC+77], v73, s[sgprBeta]       // finalSum Ci += old Ci * Br
_v_mac_f32 v[vgprValuC+77], v72, s[sgprBeta+1]     // finalSum Ci += old Cr * Bi
_v_mac_f32 v[vgprValuC+78], v74, s[sgprBeta]       // finalSum Cr += old Cr * Br
_v_mac_f32 v[vgprValuC+78], v75, -s[sgprBeta+1]    // finalSum Cr += old Ci * -Bi
_v_mac_f32 v[vgprValuC+79], v75, s[sgprBeta]       // finalSum Ci += old Ci * Br
_v_mac_f32 v[vgprValuC+79], v74, s[sgprBeta+1]     // finalSum Ci += old Cr * Bi
s_mul_i32 s32, s[sgprStrideD1J], 232               // scale StrideD *= numRows(29) * bpe
s_add_u32  s[sgprSrdD+0], s[sgprSrdD+0], s32       // incToNextRow: gra SRD += inc(lower)
s_addc_u32  s[sgprSrdD+1], s[sgprSrdD+1], 0        // incToNextRow: gra SRD += inc(upper)
_buffer_store_b128 v[76:79], v38, s[sgprSrdD:sgprSrdD+3], 0, offen, offset:0,  glc slc // store D

s_waitcnt vmcnt(7)                                 // wait C (interleaved) 7 = 8 - 5 + 5 - 1
_v_mac_f32 v[vgprValuC+92], v80, s[sgprBeta]       // finalSum Cr += old Cr * Br
_v_mac_f32 v[vgprValuC+92], v81, -s[sgprBeta+1]    // finalSum Cr += old Ci * -Bi
_v_mac_f32 v[vgprValuC+93], v81, s[sgprBeta]       // finalSum Ci += old Ci * Br
_v_mac_f32 v[vgprValuC+93], v80, s[sgprBeta+1]     // finalSum Ci += old Cr * Bi
_v_mac_f32 v[vgprValuC+94], v82, s[sgprBeta]       // finalSum Cr += old Cr * Br
_v_mac_f32 v[vgprValuC+94], v83, -s[sgprBeta+1]    // finalSum Cr += old Ci * -Bi
_v_mac_f32 v[vgprValuC+95], v83, s[sgprBeta]       // finalSum Ci += old Ci * Br
_v_mac_f32 v[vgprValuC+95], v82, s[sgprBeta+1]     // finalSum Ci += old Cr * Bi
s_lshl_b32  s32, s[sgprStrideD1J], 3               // incToNextRow: Scale by BPE
s_add_u32  s[sgprSrdD+0], s[sgprSrdD+0], s32       // incToNextRow: gra SRD += inc(lower)
s_addc_u32  s[sgprSrdD+1], s[sgprSrdD+1], 0        // incToNextRow: gra SRD += inc(upper)
_buffer_store_b128 v[92:95], v38, s[sgprSrdD:sgprSrdD+3], 0, offen, offset:0,  glc slc // store D

s_waitcnt vmcnt(7)                                 // wait C (interleaved) 7 = 8 - 6 + 6 - 1
_v_mac_f32 v[vgprValuC+100], v96, s[sgprBeta]      // finalSum Cr += old Cr * Br
_v_mac_f32 v[vgprValuC+100], v97, -s[sgprBeta+1]   // finalSum Cr += old Ci * -Bi
_v_mac_f32 v[vgprValuC+101], v97, s[sgprBeta]      // finalSum Ci += old Ci * Br
_v_mac_f32 v[vgprValuC+101], v96, s[sgprBeta+1]    // finalSum Ci += old Cr * Bi
_v_mac_f32 v[vgprValuC+102], v98, s[sgprBeta]      // finalSum Cr += old Cr * Br
_v_mac_f32 v[vgprValuC+102], v99, -s[sgprBeta+1]   // finalSum Cr += old Ci * -Bi
_v_mac_f32 v[vgprValuC+103], v99, s[sgprBeta]      // finalSum Ci += old Ci * Br
_v_mac_f32 v[vgprValuC+103], v98, s[sgprBeta+1]    // finalSum Ci += old Cr * Bi
s_lshl_b32  s32, s[sgprStrideD1J], 3               // incToNextRow: Scale by BPE
s_add_u32  s[sgprSrdD+0], s[sgprSrdD+0], s32       // incToNextRow: gra SRD += inc(lower)
s_addc_u32  s[sgprSrdD+1], s[sgprSrdD+1], 0        // incToNextRow: gra SRD += inc(upper)
_buffer_store_b128 v[100:103], v38, s[sgprSrdD:sgprSrdD+3], 0, offen, offset:0,  glc slc // store D

s_waitcnt vmcnt(7)                                 // wait C (interleaved) 7 = 8 - 7 + 7 - 1
_v_mac_f32 v[vgprValuC+108], v104, s[sgprBeta]     // finalSum Cr += old Cr * Br
_v_mac_f32 v[vgprValuC+108], v105, -s[sgprBeta+1]  // finalSum Cr += old Ci * -Bi
_v_mac_f32 v[vgprValuC+109], v105, s[sgprBeta]     // finalSum Ci += old Ci * Br
_v_mac_f32 v[vgprValuC+109], v104, s[sgprBeta+1]   // finalSum Ci += old Cr * Bi
_v_mac_f32 v[vgprValuC+110], v106, s[sgprBeta]     // finalSum Cr += old Cr * Br
_v_mac_f32 v[vgprValuC+110], v107, -s[sgprBeta+1]  // finalSum Cr += old Ci * -Bi
_v_mac_f32 v[vgprValuC+111], v107, s[sgprBeta]     // finalSum Ci += old Ci * Br
_v_mac_f32 v[vgprValuC+111], v106, s[sgprBeta+1]   // finalSum Ci += old Cr * Bi
s_lshl_b32  s32, s[sgprStrideD1J], 3               // incToNextRow: Scale by BPE
s_add_u32  s[sgprSrdD+0], s[sgprSrdD+0], s32       // incToNextRow: gra SRD += inc(lower)
s_addc_u32  s[sgprSrdD+1], s[sgprSrdD+1], 0        // incToNextRow: gra SRD += inc(upper)
_buffer_store_b128 v[108:111], v38, s[sgprSrdD:sgprSrdD+3], 0, offen, offset:0,  glc slc // store D
s_nop 0                                            // 1 wait state required when next inst writes vgprs held by previous dwordx4 store inst
s_branch label_GW_End_58                           // jump to end
GW_B1_E1_57:

/* edge=1, allocate 6 sgpr. perBatchTmpS=4 perBatchMaskS=2 perElementMaskS=0 elementsPerBatch=24 */
/* optSingleColVgpr=0 optSharedColVgpr=0 optSGPRUsage=BufferLoad_Edge_Mask optSrdIncForRow=0 */
s_sleep 3 // optimization: sync and wait
s_barrier

/******************************************/
/* Global Write Alpha Beta Edge Batch #0 (d1,d0,vc1,vc0) = */
/*    (0,0,0,0:vw1); (0,0,0,1:vw1); (0,0,1,0:vw1); (0,0,1,1:vw1); (0,0,2,0:vw1); (0,0,2,1:vw1); (0,0,3,0:vw1); (0,0,3,1:vw1); (1,0,0,0:vw1); (1,0,0,1:vw1); (1,0,1,0:vw1); (1,0,1,1:vw1); (1,0,2,0:vw1); (1,0,2,1:vw1); (1,0,3,0:vw1); (1,0,3,1:vw1) */
/******************************************/

/* calc coords, apply mask, and issue loads (if necessary) */

/* rC *= alpha batchElements=[(0, 0, 0, 0), (0, 0, 0, 1), (0, 0, 1, 0), (0, 0, 1, 1), (0, 0, 2, 0), (0, 0, 2, 1), (0, 0, 3, 0), (0, 0, 3, 1), (1, 0, 0, 0), (1, 0, 0, 1), (1, 0, 1, 0), (1, 0, 1, 1), (1, 0, 2, 0), (1, 0, 2, 1), (1, 0, 3, 0), (1, 0, 3, 1)] */
v_mul_f32 v36, s[sgprAlpha+0], v[vgprValuC+0] // 
v_mul_f32 v37, s[sgprAlpha+1], v[vgprValuC+0] // 
v_fma_f32 v[vgprValuC+42], s[sgprAlpha+1], -v[vgprValuC+16], v36
v_fma_f32 v[vgprValuC+42 +1], s[sgprAlpha+0], v[vgprValuC+16], v37
v_mul_f32 v36, s[sgprAlpha+0], v[vgprValuC+4] // 
v_mul_f32 v37, s[sgprAlpha+1], v[vgprValuC+4] // 
v_fma_f32 v[vgprValuC+46], s[sgprAlpha+1], -v[vgprValuC+20], v36
v_fma_f32 v[vgprValuC+46 +1], s[sgprAlpha+0], v[vgprValuC+20], v37
	;; [unrolled: 4-line block ×16, first 2 shown]
/* (d1,vc1,d0,vc0)=(0,0,0,0) */
v_cmp_lt_u32 s[54:55], v32, s[sgprSizeI]           // coord0 < size0
v_cmp_lt_u32 s[58:59], v33, s[sgprSizeJ]           // coord1 < size1
s_and_b64 s[58:59], s[54:55], s[58:59]             // in0 && in1
_v_add_lshl_u32 v38, v34, v32, 0x3                 // scaleToBpe: accumulate d0 lower and *= bpe into Cin addr
v_cndmask_b32 v38, -1, v38, s[58:59]               // LDC clip if OOB. offset
_buffer_load_b64 v[40:41], v38, s[sgprSrdC:sgprSrdC+3], 0, offen offset:0,  glc slc // load C for beta calc
_v_add_lshl_u32 v38, v35, v32, 0x3                 // scaleToBpe: accumulate d0 lower and *= bpe into Cin addr
v_cndmask_b32 v38, -1, v38, s[58:59]               // LDD clip if OOB. offset
/* (d1,vc1,d0,vc0)=(0,0,0,1) */
_v_add_co_u32 v36, vcc, v32, 1                     // coord0.1: coord0 += d0*sg0*VW + vc0
v_cmp_lt_u32 s[54:55], v36, s[sgprSizeI]           // coord0 < size0
v_cmp_lt_u32 s[58:59], v33, s[sgprSizeJ]           // coord1 < size1
s_and_b64 s[58:59], s[54:55], s[58:59]             // in0 && in1
_v_add_lshl_u32 v39, v34, v36, 0x3                 // scaleToBpe: accumulate d0 lower and *= bpe into Cin addr
v_cndmask_b32 v39, -1, v39, s[58:59]               // LDC clip if OOB. offset
_buffer_load_b64 v[44:45], v39, s[sgprSrdC:sgprSrdC+3], 0, offen offset:0,  glc slc // load C for beta calc
_v_add_lshl_u32 v39, v35, v36, 0x3                 // scaleToBpe: accumulate d0 lower and *= bpe into Cin addr
v_cndmask_b32 v39, -1, v39, s[58:59]               // LDD clip if OOB. offset
/* (d1,vc1,d0,vc0)=(0,1,0,0) */
_v_add_co_u32 v33, vcc, v33, 1                     // coord1.1: coord1Vgpr += d1*sg1*VW + vc1

/* Fix for UseInitialStridesCD, emitAddressSetupCode */
_v_add_u32 v34, v34, s[sgprStrideC1J]              // ROWINC- Move cinRowPtr to next row
_v_add_u32 v35, v35, s[sgprStrideD1J]              // Move coutRowPtr to next row
v_cmp_lt_u32 s[54:55], v32, s[sgprSizeI]           // coord0 < size0
v_cmp_lt_u32 s[58:59], v33, s[sgprSizeJ]           // coord1 < size1
s_and_b64 s[58:59], s[54:55], s[58:59]             // in0 && in1
_v_add_lshl_u32 v48, v34, v32, 0x3                 // scaleToBpe: accumulate d0 lower and *= bpe into Cin addr
v_cndmask_b32 v48, -1, v48, s[58:59]               // LDC clip if OOB. offset
_buffer_load_b64 v[50:51], v48, s[sgprSrdC:sgprSrdC+3], 0, offen offset:0,  glc slc // load C for beta calc
_v_add_lshl_u32 v48, v35, v32, 0x3                 // scaleToBpe: accumulate d0 lower and *= bpe into Cin addr
v_cndmask_b32 v48, -1, v48, s[58:59]               // LDD clip if OOB. offset
/* (d1,vc1,d0,vc0)=(0,1,0,1) */
_v_add_co_u32 v36, vcc, v32, 1                     // coord0.1: coord0 += d0*sg0*VW + vc0
v_cmp_lt_u32 s[54:55], v36, s[sgprSizeI]           // coord0 < size0
v_cmp_lt_u32 s[58:59], v33, s[sgprSizeJ]           // coord1 < size1
s_and_b64 s[58:59], s[54:55], s[58:59]             // in0 && in1
_v_add_lshl_u32 v49, v34, v36, 0x3                 // scaleToBpe: accumulate d0 lower and *= bpe into Cin addr
v_cndmask_b32 v49, -1, v49, s[58:59]               // LDC clip if OOB. offset
_buffer_load_b64 v[54:55], v49, s[sgprSrdC:sgprSrdC+3], 0, offen offset:0,  glc slc // load C for beta calc
_v_add_lshl_u32 v49, v35, v36, 0x3                 // scaleToBpe: accumulate d0 lower and *= bpe into Cin addr
v_cndmask_b32 v49, -1, v49, s[58:59]               // LDD clip if OOB. offset
/* (d1,vc1,d0,vc0)=(0,2,0,0) */
_v_add_co_u32 v33, vcc, v33, 1                     // coord1.1: coord1Vgpr += d1*sg1*VW + vc1

/* Fix for UseInitialStridesCD, emitAddressSetupCode */
_v_add_u32 v34, v34, s[sgprStrideC1J]              // ROWINC- Move cinRowPtr to next row
_v_add_u32 v35, v35, s[sgprStrideD1J]              // Move coutRowPtr to next row
	;; [unrolled: 24-line block ×3, first 2 shown]
v_cmp_lt_u32 s[54:55], v32, s[sgprSizeI]           // coord0 < size0
v_cmp_lt_u32 s[58:59], v33, s[sgprSizeJ]           // coord1 < size1
s_and_b64 s[58:59], s[54:55], s[58:59]             // in0 && in1
_v_add_lshl_u32 v68, v34, v32, 0x3                 // scaleToBpe: accumulate d0 lower and *= bpe into Cin addr
v_cndmask_b32 v68, -1, v68, s[58:59]               // LDC clip if OOB. offset
_buffer_load_b64 v[70:71], v68, s[sgprSrdC:sgprSrdC+3], 0, offen offset:0,  glc slc // load C for beta calc
_v_add_lshl_u32 v68, v35, v32, 0x3                 // scaleToBpe: accumulate d0 lower and *= bpe into Cin addr
v_cndmask_b32 v68, -1, v68, s[58:59]               // LDD clip if OOB. offset
/* (d1,vc1,d0,vc0)=(0,3,0,1) */
_v_add_co_u32 v36, vcc, v32, 1                     // coord0.1: coord0 += d0*sg0*VW + vc0
v_cmp_lt_u32 s[54:55], v36, s[sgprSizeI]           // coord0 < size0
v_cmp_lt_u32 s[58:59], v33, s[sgprSizeJ]           // coord1 < size1
s_and_b64 s[58:59], s[54:55], s[58:59]             // in0 && in1
_v_add_lshl_u32 v69, v34, v36, 0x3                 // scaleToBpe: accumulate d0 lower and *= bpe into Cin addr
v_cndmask_b32 v69, -1, v69, s[58:59]               // LDC clip if OOB. offset
_buffer_load_b64 v[74:75], v69, s[sgprSrdC:sgprSrdC+3], 0, offen offset:0,  glc slc // load C for beta calc
_v_add_lshl_u32 v69, v35, v36, 0x3                 // scaleToBpe: accumulate d0 lower and *= bpe into Cin addr
v_cndmask_b32 v69, -1, v69, s[58:59]               // LDD clip if OOB. offset
/* (d1,vc1,d0,vc0)=(1,0,0,0) */
_v_add_co_u32 v33, vcc, v33, 29                    // coord1.1: coord1Vgpr += d1*sg1*VW + vc1

/* Fix for UseInitialStridesCD, emitAddressSetupCode */
s_mul_i32 s54, s[sgprStrideC1J], 29                // scale stride
_v_add_u32 v34, v34, s54                           // ROWINC- Move cinRowPtr to next row
s_mul_i32 s54, s[sgprStrideD1J], 29                // scale stride
_v_add_u32 v35, v35, s54                           // Move coutRowPtr to next row
v_cmp_lt_u32 s[54:55], v32, s[sgprSizeI]           // coord0 < size0
v_cmp_lt_u32 s[58:59], v33, s[sgprSizeJ]           // coord1 < size1
s_and_b64 s[58:59], s[54:55], s[58:59]             // in0 && in1
_v_add_lshl_u32 v78, v34, v32, 0x3                 // scaleToBpe: accumulate d0 lower and *= bpe into Cin addr
v_cndmask_b32 v78, -1, v78, s[58:59]               // LDC clip if OOB. offset
_buffer_load_b64 v[80:81], v78, s[sgprSrdC:sgprSrdC+3], 0, offen offset:0,  glc slc // load C for beta calc
_v_add_lshl_u32 v78, v35, v32, 0x3                 // scaleToBpe: accumulate d0 lower and *= bpe into Cin addr
v_cndmask_b32 v78, -1, v78, s[58:59]               // LDD clip if OOB. offset
/* (d1,vc1,d0,vc0)=(1,0,0,1) */
_v_add_co_u32 v36, vcc, v32, 1                     // coord0.1: coord0 += d0*sg0*VW + vc0
v_cmp_lt_u32 s[54:55], v36, s[sgprSizeI]           // coord0 < size0
v_cmp_lt_u32 s[58:59], v33, s[sgprSizeJ]           // coord1 < size1
s_and_b64 s[58:59], s[54:55], s[58:59]             // in0 && in1
_v_add_lshl_u32 v79, v34, v36, 0x3                 // scaleToBpe: accumulate d0 lower and *= bpe into Cin addr
v_cndmask_b32 v79, -1, v79, s[58:59]               // LDC clip if OOB. offset
_buffer_load_b64 v[84:85], v79, s[sgprSrdC:sgprSrdC+3], 0, offen offset:0,  glc slc // load C for beta calc
_v_add_lshl_u32 v79, v35, v36, 0x3                 // scaleToBpe: accumulate d0 lower and *= bpe into Cin addr
v_cndmask_b32 v79, -1, v79, s[58:59]               // LDD clip if OOB. offset
/* (d1,vc1,d0,vc0)=(1,1,0,0) */
_v_add_co_u32 v33, vcc, v33, 1                     // coord1.1: coord1Vgpr += d1*sg1*VW + vc1

/* Fix for UseInitialStridesCD, emitAddressSetupCode */
_v_add_u32 v34, v34, s[sgprStrideC1J]              // ROWINC- Move cinRowPtr to next row
_v_add_u32 v35, v35, s[sgprStrideD1J]              // Move coutRowPtr to next row
v_cmp_lt_u32 s[54:55], v32, s[sgprSizeI]           // coord0 < size0
v_cmp_lt_u32 s[58:59], v33, s[sgprSizeJ]           // coord1 < size1
s_and_b64 s[58:59], s[54:55], s[58:59]             // in0 && in1
_v_add_lshl_u32 v89, v34, v32, 0x3                 // scaleToBpe: accumulate d0 lower and *= bpe into Cin addr
v_cndmask_b32 v89, -1, v89, s[58:59]               // LDC clip if OOB. offset
_buffer_load_b64 v[92:93], v89, s[sgprSrdC:sgprSrdC+3], 0, offen offset:0,  glc slc // load C for beta calc
_v_add_lshl_u32 v89, v35, v32, 0x3                 // scaleToBpe: accumulate d0 lower and *= bpe into Cin addr
v_cndmask_b32 v89, -1, v89, s[58:59]               // LDD clip if OOB. offset
/* (d1,vc1,d0,vc0)=(1,1,0,1) */
_v_add_co_u32 v36, vcc, v32, 1                     // coord0.1: coord0 += d0*sg0*VW + vc0
v_cmp_lt_u32 s[54:55], v36, s[sgprSizeI]           // coord0 < size0
v_cmp_lt_u32 s[58:59], v33, s[sgprSizeJ]           // coord1 < size1
s_and_b64 s[58:59], s[54:55], s[58:59]             // in0 && in1
_v_add_lshl_u32 v96, v34, v36, 0x3                 // scaleToBpe: accumulate d0 lower and *= bpe into Cin addr
v_cndmask_b32 v96, -1, v96, s[58:59]               // LDC clip if OOB. offset
_buffer_load_b64 v[98:99], v96, s[sgprSrdC:sgprSrdC+3], 0, offen offset:0,  glc slc // load C for beta calc
_v_add_lshl_u32 v96, v35, v36, 0x3                 // scaleToBpe: accumulate d0 lower and *= bpe into Cin addr
v_cndmask_b32 v96, -1, v96, s[58:59]               // LDD clip if OOB. offset
/* (d1,vc1,d0,vc0)=(1,2,0,0) */
_v_add_co_u32 v33, vcc, v33, 1                     // coord1.1: coord1Vgpr += d1*sg1*VW + vc1

/* Fix for UseInitialStridesCD, emitAddressSetupCode */
_v_add_u32 v34, v34, s[sgprStrideC1J]              // ROWINC- Move cinRowPtr to next row
_v_add_u32 v35, v35, s[sgprStrideD1J]              // Move coutRowPtr to next row
v_cmp_lt_u32 s[54:55], v32, s[sgprSizeI]           // coord0 < size0
v_cmp_lt_u32 s[58:59], v33, s[sgprSizeJ]           // coord1 < size1
s_and_b64 s[58:59], s[54:55], s[58:59]             // in0 && in1
_v_add_lshl_u32 v97, v34, v32, 0x3                 // scaleToBpe: accumulate d0 lower and *= bpe into Cin addr
v_cndmask_b32 v97, -1, v97, s[58:59]               // LDC clip if OOB. offset
_buffer_load_b64 v[102:103], v97, s[sgprSrdC:sgprSrdC+3], 0, offen offset:0,  glc slc // load C for beta calc
_v_add_lshl_u32 v97, v35, v32, 0x3                 // scaleToBpe: accumulate d0 lower and *= bpe into Cin addr
v_cndmask_b32 v97, -1, v97, s[58:59]               // LDD clip if OOB. offset
/* (d1,vc1,d0,vc0)=(1,2,0,1) */
_v_add_co_u32 v36, vcc, v32, 1                     // coord0.1: coord0 += d0*sg0*VW + vc0
v_cmp_lt_u32 s[54:55], v36, s[sgprSizeI]           // coord0 < size0
v_cmp_lt_u32 s[58:59], v33, s[sgprSizeJ]           // coord1 < size1
s_and_b64 s[58:59], s[54:55], s[58:59]             // in0 && in1
_v_add_lshl_u32 v106, v34, v36, 0x3                // scaleToBpe: accumulate d0 lower and *= bpe into Cin addr
v_cndmask_b32 v106, -1, v106, s[58:59]             // LDC clip if OOB. offset
_buffer_load_b64 v[108:109], v106, s[sgprSrdC:sgprSrdC+3], 0, offen offset:0,  glc slc // load C for beta calc
_v_add_lshl_u32 v106, v35, v36, 0x3                // scaleToBpe: accumulate d0 lower and *= bpe into Cin addr
v_cndmask_b32 v106, -1, v106, s[58:59]             // LDD clip if OOB. offset
/* (d1,vc1,d0,vc0)=(1,3,0,0) */
_v_add_co_u32 v33, vcc, v33, 1                     // coord1.1: coord1Vgpr += d1*sg1*VW + vc1

/* Fix for UseInitialStridesCD, emitAddressSetupCode */
_v_add_u32 v34, v34, s[sgprStrideC1J]              // ROWINC- Move cinRowPtr to next row
_v_add_u32 v35, v35, s[sgprStrideD1J]              // Move coutRowPtr to next row
v_cmp_lt_u32 s[54:55], v32, s[sgprSizeI]           // coord0 < size0
v_cmp_lt_u32 s[58:59], v33, s[sgprSizeJ]           // coord1 < size1
s_and_b64 s[58:59], s[54:55], s[58:59]             // in0 && in1
_v_add_lshl_u32 v107, v34, v32, 0x3                // scaleToBpe: accumulate d0 lower and *= bpe into Cin addr
v_cndmask_b32 v107, -1, v107, s[58:59]             // LDC clip if OOB. offset
_buffer_load_b64 v[112:113], v107, s[sgprSrdC:sgprSrdC+3], 0, offen offset:0,  glc slc // load C for beta calc
_v_add_lshl_u32 v107, v35, v32, 0x3                // scaleToBpe: accumulate d0 lower and *= bpe into Cin addr
v_cndmask_b32 v107, -1, v107, s[58:59]             // LDD clip if OOB. offset
/* (d1,vc1,d0,vc0)=(1,3,0,1) */
_v_add_co_u32 v36, vcc, v32, 1                     // coord0.1: coord0 += d0*sg0*VW + vc0
v_cmp_lt_u32 s[54:55], v36, s[sgprSizeI]           // coord0 < size0
v_cmp_lt_u32 s[58:59], v33, s[sgprSizeJ]           // coord1 < size1
s_and_b64 s[58:59], s[54:55], s[58:59]             // in0 && in1
_v_add_lshl_u32 v116, v34, v36, 0x3                // scaleToBpe: accumulate d0 lower and *= bpe into Cin addr
v_cndmask_b32 v116, -1, v116, s[58:59]             // LDC clip if OOB. offset
_buffer_load_b64 v[118:119], v116, s[sgprSrdC:sgprSrdC+3], 0, offen offset:0,  glc slc // load C for beta calc
_v_add_lshl_u32 v116, v35, v36, 0x3                // scaleToBpe: accumulate d0 lower and *= bpe into Cin addr
v_cndmask_b32 v116, -1, v116, s[58:59]             // LDD clip if OOB. offset
s_sleep 3 // optimization: sync and wait
s_barrier
s_waitcnt vmcnt(0)                                 // wait C

/* apply mask, calc new C and issue writes */
_v_mac_f32 v[vgprValuC+42], v40, s[sgprBeta]       // finalSum Cr += old Cr * Br
_v_mac_f32 v[vgprValuC+42], v41, -s[sgprBeta+1]    // finalSum Cr += old Ci * -Bi
_v_mac_f32 v[vgprValuC+43], v41, s[sgprBeta]       // finalSum Ci += old Ci * Br
_v_mac_f32 v[vgprValuC+43], v40, s[sgprBeta+1]     // finalSum Ci += old Cr * Bi
_buffer_store_b64 v[42:43], v38, s[sgprSrdD:sgprSrdD+3], 0, offen, offset:0,  glc slc // store D
_v_mac_f32 v[vgprValuC+46], v44, s[sgprBeta]       // finalSum Cr += old Cr * Br
_v_mac_f32 v[vgprValuC+46], v45, -s[sgprBeta+1]    // finalSum Cr += old Ci * -Bi
_v_mac_f32 v[vgprValuC+47], v45, s[sgprBeta]       // finalSum Ci += old Ci * Br
_v_mac_f32 v[vgprValuC+47], v44, s[sgprBeta+1]     // finalSum Ci += old Cr * Bi
_buffer_store_b64 v[46:47], v39, s[sgprSrdD:sgprSrdD+3], 0, offen, offset:0,  glc slc // store D
	;; [unrolled: 5-line block ×11, first 2 shown]
_v_mac_f32 v[vgprValuC+100], v98, s[sgprBeta]      // finalSum Cr += old Cr * Br
_v_mac_f32 v[vgprValuC+100], v99, -s[sgprBeta+1]   // finalSum Cr += old Ci * -Bi
_v_mac_f32 v[vgprValuC+101], v99, s[sgprBeta]      // finalSum Ci += old Ci * Br
_v_mac_f32 v[vgprValuC+101], v98, s[sgprBeta+1]    // finalSum Ci += old Cr * Bi
_buffer_store_b64 v[100:101], v96, s[sgprSrdD:sgprSrdD+3], 0, offen, offset:0,  glc slc // store D
_v_mac_f32 v[vgprValuC+104], v102, s[sgprBeta]     // finalSum Cr += old Cr * Br
_v_mac_f32 v[vgprValuC+104], v103, -s[sgprBeta+1]  // finalSum Cr += old Ci * -Bi
_v_mac_f32 v[vgprValuC+105], v103, s[sgprBeta]     // finalSum Ci += old Ci * Br
_v_mac_f32 v[vgprValuC+105], v102, s[sgprBeta+1]   // finalSum Ci += old Cr * Bi
_buffer_store_b64 v[104:105], v97, s[sgprSrdD:sgprSrdD+3], 0, offen, offset:0,  glc slc // store D
_v_mac_f32 v[vgprValuC+110], v108, s[sgprBeta]     // finalSum Cr += old Cr * Br
_v_mac_f32 v[vgprValuC+110], v109, -s[sgprBeta+1]  // finalSum Cr += old Ci * -Bi
_v_mac_f32 v[vgprValuC+111], v109, s[sgprBeta]     // finalSum Ci += old Ci * Br
_v_mac_f32 v[vgprValuC+111], v108, s[sgprBeta+1]   // finalSum Ci += old Cr * Bi
_buffer_store_b64 v[110:111], v106, s[sgprSrdD:sgprSrdD+3], 0, offen, offset:0,  glc slc // store D
_v_mac_f32 v[vgprValuC+114], v112, s[sgprBeta]     // finalSum Cr += old Cr * Br
_v_mac_f32 v[vgprValuC+114], v113, -s[sgprBeta+1]  // finalSum Cr += old Ci * -Bi
_v_mac_f32 v[vgprValuC+115], v113, s[sgprBeta]     // finalSum Ci += old Ci * Br
_v_mac_f32 v[vgprValuC+115], v112, s[sgprBeta+1]   // finalSum Ci += old Cr * Bi
_buffer_store_b64 v[114:115], v107, s[sgprSrdD:sgprSrdD+3], 0, offen, offset:0,  glc slc // store D
_v_mac_f32 v[vgprValuC+120], v118, s[sgprBeta]     // finalSum Cr += old Cr * Br
_v_mac_f32 v[vgprValuC+120], v119, -s[sgprBeta+1]  // finalSum Cr += old Ci * -Bi
_v_mac_f32 v[vgprValuC+121], v119, s[sgprBeta]     // finalSum Ci += old Ci * Br
_v_mac_f32 v[vgprValuC+121], v118, s[sgprBeta+1]   // finalSum Ci += old Cr * Bi
_buffer_store_b64 v[120:121], v116, s[sgprSrdD:sgprSrdD+3], 0, offen, offset:0,  glc slc // store D
s_nop 0                                            // 1 wait state required when next inst writes vgprs held by previous dwordx4 store inst
s_branch label_GW_End_58                           // jump to end
label_GW_End_58:

label_0063:  /// KernelEnd
s_endpgm                                           // Kernel End

